;; amdgpu-corpus repo=ROCm/rocFFT kind=compiled arch=gfx906 opt=O3
	.text
	.amdgcn_target "amdgcn-amd-amdhsa--gfx906"
	.amdhsa_code_object_version 6
	.protected	fft_rtc_back_len1428_factors_17_2_7_6_wgs_119_tpt_119_halfLds_half_ip_CI_unitstride_sbrr_C2R_dirReg ; -- Begin function fft_rtc_back_len1428_factors_17_2_7_6_wgs_119_tpt_119_halfLds_half_ip_CI_unitstride_sbrr_C2R_dirReg
	.globl	fft_rtc_back_len1428_factors_17_2_7_6_wgs_119_tpt_119_halfLds_half_ip_CI_unitstride_sbrr_C2R_dirReg
	.p2align	8
	.type	fft_rtc_back_len1428_factors_17_2_7_6_wgs_119_tpt_119_halfLds_half_ip_CI_unitstride_sbrr_C2R_dirReg,@function
fft_rtc_back_len1428_factors_17_2_7_6_wgs_119_tpt_119_halfLds_half_ip_CI_unitstride_sbrr_C2R_dirReg: ; @fft_rtc_back_len1428_factors_17_2_7_6_wgs_119_tpt_119_halfLds_half_ip_CI_unitstride_sbrr_C2R_dirReg
; %bb.0:
	s_load_dwordx2 s[2:3], s[4:5], 0x50
	s_load_dwordx4 s[8:11], s[4:5], 0x0
	s_load_dwordx2 s[12:13], s[4:5], 0x18
	v_mul_u32_u24_e32 v1, 0x227, v0
	v_add_u32_sdwa v5, s6, v1 dst_sel:DWORD dst_unused:UNUSED_PAD src0_sel:DWORD src1_sel:WORD_1
	v_mov_b32_e32 v3, 0
	s_waitcnt lgkmcnt(0)
	v_cmp_lt_u64_e64 s[0:1], s[10:11], 2
	v_mov_b32_e32 v1, 0
	v_mov_b32_e32 v6, v3
	s_and_b64 vcc, exec, s[0:1]
	v_mov_b32_e32 v2, 0
	s_cbranch_vccnz .LBB0_8
; %bb.1:
	s_load_dwordx2 s[0:1], s[4:5], 0x10
	s_add_u32 s6, s12, 8
	s_addc_u32 s7, s13, 0
	v_mov_b32_e32 v1, 0
	v_mov_b32_e32 v2, 0
	s_waitcnt lgkmcnt(0)
	s_add_u32 s14, s0, 8
	s_addc_u32 s15, s1, 0
	s_mov_b64 s[16:17], 1
.LBB0_2:                                ; =>This Inner Loop Header: Depth=1
	s_load_dwordx2 s[18:19], s[14:15], 0x0
                                        ; implicit-def: $vgpr7_vgpr8
	s_waitcnt lgkmcnt(0)
	v_or_b32_e32 v4, s19, v6
	v_cmp_ne_u64_e32 vcc, 0, v[3:4]
	s_and_saveexec_b64 s[0:1], vcc
	s_xor_b64 s[20:21], exec, s[0:1]
	s_cbranch_execz .LBB0_4
; %bb.3:                                ;   in Loop: Header=BB0_2 Depth=1
	v_cvt_f32_u32_e32 v4, s18
	v_cvt_f32_u32_e32 v7, s19
	s_sub_u32 s0, 0, s18
	s_subb_u32 s1, 0, s19
	v_mac_f32_e32 v4, 0x4f800000, v7
	v_rcp_f32_e32 v4, v4
	v_mul_f32_e32 v4, 0x5f7ffffc, v4
	v_mul_f32_e32 v7, 0x2f800000, v4
	v_trunc_f32_e32 v7, v7
	v_mac_f32_e32 v4, 0xcf800000, v7
	v_cvt_u32_f32_e32 v7, v7
	v_cvt_u32_f32_e32 v4, v4
	v_mul_lo_u32 v8, s0, v7
	v_mul_hi_u32 v9, s0, v4
	v_mul_lo_u32 v11, s1, v4
	v_mul_lo_u32 v10, s0, v4
	v_add_u32_e32 v8, v9, v8
	v_add_u32_e32 v8, v8, v11
	v_mul_hi_u32 v9, v4, v10
	v_mul_lo_u32 v11, v4, v8
	v_mul_hi_u32 v13, v4, v8
	v_mul_hi_u32 v12, v7, v10
	v_mul_lo_u32 v10, v7, v10
	v_mul_hi_u32 v14, v7, v8
	v_add_co_u32_e32 v9, vcc, v9, v11
	v_addc_co_u32_e32 v11, vcc, 0, v13, vcc
	v_mul_lo_u32 v8, v7, v8
	v_add_co_u32_e32 v9, vcc, v9, v10
	v_addc_co_u32_e32 v9, vcc, v11, v12, vcc
	v_addc_co_u32_e32 v10, vcc, 0, v14, vcc
	v_add_co_u32_e32 v8, vcc, v9, v8
	v_addc_co_u32_e32 v9, vcc, 0, v10, vcc
	v_add_co_u32_e32 v4, vcc, v4, v8
	v_addc_co_u32_e32 v7, vcc, v7, v9, vcc
	v_mul_lo_u32 v8, s0, v7
	v_mul_hi_u32 v9, s0, v4
	v_mul_lo_u32 v10, s1, v4
	v_mul_lo_u32 v11, s0, v4
	v_add_u32_e32 v8, v9, v8
	v_add_u32_e32 v8, v8, v10
	v_mul_lo_u32 v12, v4, v8
	v_mul_hi_u32 v13, v4, v11
	v_mul_hi_u32 v14, v4, v8
	;; [unrolled: 1-line block ×3, first 2 shown]
	v_mul_lo_u32 v11, v7, v11
	v_mul_hi_u32 v9, v7, v8
	v_add_co_u32_e32 v12, vcc, v13, v12
	v_addc_co_u32_e32 v13, vcc, 0, v14, vcc
	v_mul_lo_u32 v8, v7, v8
	v_add_co_u32_e32 v11, vcc, v12, v11
	v_addc_co_u32_e32 v10, vcc, v13, v10, vcc
	v_addc_co_u32_e32 v9, vcc, 0, v9, vcc
	v_add_co_u32_e32 v8, vcc, v10, v8
	v_addc_co_u32_e32 v9, vcc, 0, v9, vcc
	v_add_co_u32_e32 v4, vcc, v4, v8
	v_addc_co_u32_e32 v9, vcc, v7, v9, vcc
	v_mad_u64_u32 v[7:8], s[0:1], v5, v9, 0
	v_mul_hi_u32 v10, v5, v4
	v_add_co_u32_e32 v11, vcc, v10, v7
	v_addc_co_u32_e32 v12, vcc, 0, v8, vcc
	v_mad_u64_u32 v[7:8], s[0:1], v6, v4, 0
	v_mad_u64_u32 v[9:10], s[0:1], v6, v9, 0
	v_add_co_u32_e32 v4, vcc, v11, v7
	v_addc_co_u32_e32 v4, vcc, v12, v8, vcc
	v_addc_co_u32_e32 v7, vcc, 0, v10, vcc
	v_add_co_u32_e32 v4, vcc, v4, v9
	v_addc_co_u32_e32 v9, vcc, 0, v7, vcc
	v_mul_lo_u32 v10, s19, v4
	v_mul_lo_u32 v11, s18, v9
	v_mad_u64_u32 v[7:8], s[0:1], s18, v4, 0
	v_add3_u32 v8, v8, v11, v10
	v_sub_u32_e32 v10, v6, v8
	v_mov_b32_e32 v11, s19
	v_sub_co_u32_e32 v7, vcc, v5, v7
	v_subb_co_u32_e64 v10, s[0:1], v10, v11, vcc
	v_subrev_co_u32_e64 v11, s[0:1], s18, v7
	v_subbrev_co_u32_e64 v10, s[0:1], 0, v10, s[0:1]
	v_cmp_le_u32_e64 s[0:1], s19, v10
	v_cndmask_b32_e64 v12, 0, -1, s[0:1]
	v_cmp_le_u32_e64 s[0:1], s18, v11
	v_cndmask_b32_e64 v11, 0, -1, s[0:1]
	v_cmp_eq_u32_e64 s[0:1], s19, v10
	v_cndmask_b32_e64 v10, v12, v11, s[0:1]
	v_add_co_u32_e64 v11, s[0:1], 2, v4
	v_addc_co_u32_e64 v12, s[0:1], 0, v9, s[0:1]
	v_add_co_u32_e64 v13, s[0:1], 1, v4
	v_addc_co_u32_e64 v14, s[0:1], 0, v9, s[0:1]
	v_subb_co_u32_e32 v8, vcc, v6, v8, vcc
	v_cmp_ne_u32_e64 s[0:1], 0, v10
	v_cmp_le_u32_e32 vcc, s19, v8
	v_cndmask_b32_e64 v10, v14, v12, s[0:1]
	v_cndmask_b32_e64 v12, 0, -1, vcc
	v_cmp_le_u32_e32 vcc, s18, v7
	v_cndmask_b32_e64 v7, 0, -1, vcc
	v_cmp_eq_u32_e32 vcc, s19, v8
	v_cndmask_b32_e32 v7, v12, v7, vcc
	v_cmp_ne_u32_e32 vcc, 0, v7
	v_cndmask_b32_e64 v7, v13, v11, s[0:1]
	v_cndmask_b32_e32 v8, v9, v10, vcc
	v_cndmask_b32_e32 v7, v4, v7, vcc
.LBB0_4:                                ;   in Loop: Header=BB0_2 Depth=1
	s_andn2_saveexec_b64 s[0:1], s[20:21]
	s_cbranch_execz .LBB0_6
; %bb.5:                                ;   in Loop: Header=BB0_2 Depth=1
	v_cvt_f32_u32_e32 v4, s18
	s_sub_i32 s20, 0, s18
	v_rcp_iflag_f32_e32 v4, v4
	v_mul_f32_e32 v4, 0x4f7ffffe, v4
	v_cvt_u32_f32_e32 v4, v4
	v_mul_lo_u32 v7, s20, v4
	v_mul_hi_u32 v7, v4, v7
	v_add_u32_e32 v4, v4, v7
	v_mul_hi_u32 v4, v5, v4
	v_mul_lo_u32 v7, v4, s18
	v_add_u32_e32 v8, 1, v4
	v_sub_u32_e32 v7, v5, v7
	v_subrev_u32_e32 v9, s18, v7
	v_cmp_le_u32_e32 vcc, s18, v7
	v_cndmask_b32_e32 v7, v7, v9, vcc
	v_cndmask_b32_e32 v4, v4, v8, vcc
	v_add_u32_e32 v8, 1, v4
	v_cmp_le_u32_e32 vcc, s18, v7
	v_cndmask_b32_e32 v7, v4, v8, vcc
	v_mov_b32_e32 v8, v3
.LBB0_6:                                ;   in Loop: Header=BB0_2 Depth=1
	s_or_b64 exec, exec, s[0:1]
	v_mul_lo_u32 v4, v8, s18
	v_mul_lo_u32 v11, v7, s19
	v_mad_u64_u32 v[9:10], s[0:1], v7, s18, 0
	s_load_dwordx2 s[0:1], s[6:7], 0x0
	s_add_u32 s16, s16, 1
	v_add3_u32 v4, v10, v11, v4
	v_sub_co_u32_e32 v5, vcc, v5, v9
	v_subb_co_u32_e32 v4, vcc, v6, v4, vcc
	s_waitcnt lgkmcnt(0)
	v_mul_lo_u32 v4, s0, v4
	v_mul_lo_u32 v6, s1, v5
	v_mad_u64_u32 v[1:2], s[0:1], s0, v5, v[1:2]
	s_addc_u32 s17, s17, 0
	s_add_u32 s6, s6, 8
	v_add3_u32 v2, v6, v2, v4
	v_mov_b32_e32 v4, s10
	v_mov_b32_e32 v5, s11
	s_addc_u32 s7, s7, 0
	v_cmp_ge_u64_e32 vcc, s[16:17], v[4:5]
	s_add_u32 s14, s14, 8
	s_addc_u32 s15, s15, 0
	s_cbranch_vccnz .LBB0_9
; %bb.7:                                ;   in Loop: Header=BB0_2 Depth=1
	v_mov_b32_e32 v5, v7
	v_mov_b32_e32 v6, v8
	s_branch .LBB0_2
.LBB0_8:
	v_mov_b32_e32 v8, v6
	v_mov_b32_e32 v7, v5
.LBB0_9:
	s_lshl_b64 s[0:1], s[10:11], 3
	s_add_u32 s0, s12, s0
	s_addc_u32 s1, s13, s1
	s_load_dwordx2 s[6:7], s[0:1], 0x0
	s_load_dwordx2 s[10:11], s[4:5], 0x20
	s_waitcnt lgkmcnt(0)
	v_mad_u64_u32 v[1:2], s[0:1], s6, v7, v[1:2]
	v_mul_lo_u32 v3, s6, v8
	v_mul_lo_u32 v4, s7, v7
	s_mov_b32 s0, 0x226b903
	v_mul_hi_u32 v5, v0, s0
	v_cmp_gt_u64_e64 s[0:1], s[10:11], v[7:8]
	v_add3_u32 v2, v4, v2, v3
	v_lshlrev_b64 v[2:3], 2, v[1:2]
	v_mul_u32_u24_e32 v4, 0x77, v5
	v_sub_u32_e32 v0, v0, v4
	s_and_saveexec_b64 s[4:5], s[0:1]
	s_cbranch_execz .LBB0_13
; %bb.10:
	v_mov_b32_e32 v1, 0
	v_mov_b32_e32 v4, s3
	v_add_co_u32_e32 v5, vcc, s2, v2
	v_lshlrev_b64 v[6:7], 2, v[0:1]
	v_addc_co_u32_e32 v4, vcc, v4, v3, vcc
	v_add_co_u32_e32 v6, vcc, v5, v6
	v_addc_co_u32_e32 v7, vcc, v4, v7, vcc
	v_add_co_u32_e32 v8, vcc, 0x1000, v6
	global_load_dword v10, v[6:7], off
	global_load_dword v11, v[6:7], off offset:476
	global_load_dword v12, v[6:7], off offset:952
	;; [unrolled: 1-line block ×7, first 2 shown]
	v_addc_co_u32_e32 v9, vcc, 0, v7, vcc
	global_load_dword v18, v[6:7], off offset:3808
	global_load_dword v19, v[8:9], off offset:188
	;; [unrolled: 1-line block ×4, first 2 shown]
	s_movk_i32 s6, 0x76
	v_lshl_add_u32 v6, v0, 2, 0
	v_cmp_eq_u32_e32 vcc, s6, v0
	v_add_u32_e32 v7, 0x200, v6
	v_add_u32_e32 v8, 0x600, v6
	;; [unrolled: 1-line block ×5, first 2 shown]
	s_waitcnt vmcnt(10)
	ds_write2_b32 v6, v10, v11 offset1:119
	s_waitcnt vmcnt(8)
	ds_write2_b32 v7, v12, v13 offset0:110 offset1:229
	s_waitcnt vmcnt(6)
	ds_write2_b32 v8, v14, v15 offset0:92 offset1:211
	;; [unrolled: 2-line block ×5, first 2 shown]
	s_and_saveexec_b64 s[6:7], vcc
	s_cbranch_execz .LBB0_12
; %bb.11:
	v_add_co_u32_e32 v5, vcc, 0x1000, v5
	v_addc_co_u32_e32 v6, vcc, 0, v4, vcc
	global_load_dword v0, v[5:6], off offset:1616
	s_waitcnt vmcnt(0)
	ds_write_b32 v1, v0 offset:5712
	v_mov_b32_e32 v0, 0x76
.LBB0_12:
	s_or_b64 exec, exec, s[6:7]
.LBB0_13:
	s_or_b64 exec, exec, s[4:5]
	v_lshlrev_b32_e32 v1, 2, v0
	v_add_u32_e32 v22, 0, v1
	s_waitcnt lgkmcnt(0)
	s_barrier
	v_sub_u32_e32 v6, 0, v1
	ds_read_u16 v9, v22
	ds_read_u16 v10, v6 offset:5712
	s_add_u32 s6, s8, 0x160c
	s_addc_u32 s7, s9, 0
	v_cmp_ne_u32_e32 vcc, 0, v0
                                        ; implicit-def: $vgpr4_vgpr5
	s_waitcnt lgkmcnt(0)
	v_add_f16_e32 v7, v10, v9
	v_sub_f16_e32 v8, v9, v10
	s_and_saveexec_b64 s[4:5], vcc
	s_xor_b64 s[4:5], exec, s[4:5]
	s_cbranch_execz .LBB0_15
; %bb.14:
	v_mov_b32_e32 v1, 0
	v_lshlrev_b64 v[4:5], 2, v[0:1]
	v_mov_b32_e32 v7, s7
	v_add_co_u32_e32 v4, vcc, s6, v4
	v_addc_co_u32_e32 v5, vcc, v7, v5, vcc
	global_load_dword v4, v[4:5], off
	ds_read_u16 v5, v6 offset:5714
	ds_read_u16 v7, v22 offset:2
	v_add_f16_e32 v8, v10, v9
	v_sub_f16_e32 v9, v9, v10
	s_waitcnt lgkmcnt(0)
	v_add_f16_e32 v10, v5, v7
	v_sub_f16_e32 v5, v7, v5
	s_waitcnt vmcnt(0)
	v_lshrrev_b32_e32 v7, 16, v4
	v_fma_f16 v11, v9, v7, v8
	v_fma_f16 v12, v10, v7, v5
	v_fma_f16 v13, -v9, v7, v8
	v_fma_f16 v5, v10, v7, -v5
	v_fma_f16 v7, -v4, v10, v11
	v_fma_f16 v8, v9, v4, v12
	v_fma_f16 v10, v4, v10, v13
	;; [unrolled: 1-line block ×3, first 2 shown]
	v_pack_b32_f16 v4, v10, v4
	ds_write_b32 v6, v4 offset:5712
	v_mov_b32_e32 v5, v1
	v_mov_b32_e32 v4, v0
.LBB0_15:
	s_andn2_saveexec_b64 s[4:5], s[4:5]
	s_cbranch_execz .LBB0_17
; %bb.16:
	v_mov_b32_e32 v1, 0
	ds_read_b32 v4, v1 offset:2856
	s_mov_b32 s10, 0xc0004000
	s_waitcnt lgkmcnt(0)
	v_pk_mul_f16 v9, v4, s10
	v_mov_b32_e32 v4, 0
	v_mov_b32_e32 v5, 0
	ds_write_b32 v1, v9 offset:2856
.LBB0_17:
	s_or_b64 exec, exec, s[4:5]
	v_lshlrev_b64 v[4:5], 2, v[4:5]
	v_mov_b32_e32 v1, s7
	v_add_co_u32_e32 v4, vcc, s6, v4
	v_addc_co_u32_e32 v5, vcc, v1, v5, vcc
	global_load_dword v1, v[4:5], off offset:476
	global_load_dword v9, v[4:5], off offset:952
	;; [unrolled: 1-line block ×4, first 2 shown]
	s_mov_b32 s6, 0x5040100
	v_perm_b32 v7, v8, v7, s6
	ds_write_b32 v22, v7
	ds_read_b32 v7, v22 offset:476
	ds_read_b32 v8, v6 offset:5236
	global_load_dword v4, v[4:5], off offset:2380
	s_mov_b32 s18, 0xbbf7
	s_movk_i32 s7, 0x2de8
	s_mov_b32 s12, 0xb1e1
	s_waitcnt lgkmcnt(0)
	v_add_f16_e32 v5, v7, v8
	v_add_f16_sdwa v12, v8, v7 dst_sel:DWORD dst_unused:UNUSED_PAD src0_sel:WORD_1 src1_sel:WORD_1
	v_sub_f16_e32 v13, v7, v8
	v_sub_f16_sdwa v7, v7, v8 dst_sel:DWORD dst_unused:UNUSED_PAD src0_sel:WORD_1 src1_sel:WORD_1
	s_mov_b32 s10, 0xbbb2
	s_mov_b32 s13, 0xbbdd
	;; [unrolled: 1-line block ×3, first 2 shown]
	s_movk_i32 s23, 0x3836
	s_mov_b32 s14, 0xbacd
	s_movk_i32 s24, 0x3bb2
	s_movk_i32 s15, 0x3964
	;; [unrolled: 1-line block ×5, first 2 shown]
	s_mov_b32 s27, 0xbb29
	s_movk_i32 s20, 0x3722
	v_add_u32_e32 v26, 0x600, v22
	v_add_u32_e32 v25, 0xc00, v22
	s_mov_b32 s21, 0xb836
	s_movk_i32 s22, 0x3bf7
	s_movk_i32 s30, 0x3a62
	s_mov_b32 s25, 0xb8d2
	s_mov_b32 s29, 0xb5c8
	;; [unrolled: 1-line block ×3, first 2 shown]
	s_movk_i32 s4, 0x54
	v_cmp_gt_u32_e32 vcc, s4, v0
	s_waitcnt vmcnt(4)
	v_lshrrev_b32_e32 v8, 16, v1
	v_fma_f16 v14, v13, v8, v5
	v_fma_f16 v15, v12, v8, v7
	v_fma_f16 v5, -v13, v8, v5
	v_fma_f16 v7, v12, v8, -v7
	v_fma_f16 v8, -v1, v12, v14
	v_fma_f16 v14, v13, v1, v15
	v_fma_f16 v5, v1, v12, v5
	v_fma_f16 v1, v13, v1, v7
	v_pack_b32_f16 v7, v8, v14
	v_pack_b32_f16 v1, v5, v1
	ds_write_b32 v22, v7 offset:476
	ds_write_b32 v6, v1 offset:5236
	ds_read_b32 v1, v22 offset:952
	ds_read_b32 v5, v6 offset:4760
	s_waitcnt vmcnt(3)
	v_lshrrev_b32_e32 v7, 16, v9
	s_waitcnt lgkmcnt(0)
	v_add_f16_e32 v8, v1, v5
	v_add_f16_sdwa v12, v5, v1 dst_sel:DWORD dst_unused:UNUSED_PAD src0_sel:WORD_1 src1_sel:WORD_1
	v_sub_f16_e32 v13, v1, v5
	v_sub_f16_sdwa v1, v1, v5 dst_sel:DWORD dst_unused:UNUSED_PAD src0_sel:WORD_1 src1_sel:WORD_1
	v_fma_f16 v5, v13, v7, v8
	v_fma_f16 v14, v12, v7, v1
	v_fma_f16 v8, -v13, v7, v8
	v_fma_f16 v1, v12, v7, -v1
	v_fma_f16 v5, -v9, v12, v5
	v_fma_f16 v7, v13, v9, v14
	v_fma_f16 v8, v9, v12, v8
	v_fma_f16 v1, v13, v9, v1
	v_pack_b32_f16 v5, v5, v7
	v_pack_b32_f16 v1, v8, v1
	ds_write_b32 v22, v5 offset:952
	ds_write_b32 v6, v1 offset:4760
	ds_read_b32 v1, v22 offset:1428
	ds_read_b32 v5, v6 offset:4284
	s_waitcnt vmcnt(2)
	v_lshrrev_b32_e32 v7, 16, v10
	s_waitcnt lgkmcnt(0)
	v_add_f16_e32 v8, v1, v5
	v_add_f16_sdwa v9, v5, v1 dst_sel:DWORD dst_unused:UNUSED_PAD src0_sel:WORD_1 src1_sel:WORD_1
	v_sub_f16_e32 v12, v1, v5
	v_sub_f16_sdwa v1, v1, v5 dst_sel:DWORD dst_unused:UNUSED_PAD src0_sel:WORD_1 src1_sel:WORD_1
	;; [unrolled: 21-line block ×3, first 2 shown]
	v_fma_f16 v5, v10, v7, v8
	v_fma_f16 v12, v9, v7, v1
	v_fma_f16 v8, -v10, v7, v8
	v_fma_f16 v1, v9, v7, -v1
	v_fma_f16 v5, -v11, v9, v5
	v_fma_f16 v7, v10, v11, v12
	v_fma_f16 v8, v11, v9, v8
	;; [unrolled: 1-line block ×3, first 2 shown]
	v_pack_b32_f16 v5, v5, v7
	v_pack_b32_f16 v1, v8, v1
	ds_write_b32 v22, v5 offset:1904
	ds_write_b32 v6, v1 offset:3808
	ds_read_b32 v1, v22 offset:2380
	ds_read_b32 v5, v6 offset:3332
	s_waitcnt vmcnt(0)
	v_lshrrev_b32_e32 v7, 16, v4
	v_add_u32_e32 v8, 0x1000, v22
	s_waitcnt lgkmcnt(0)
	v_add_f16_e32 v9, v1, v5
	v_add_f16_sdwa v10, v5, v1 dst_sel:DWORD dst_unused:UNUSED_PAD src0_sel:WORD_1 src1_sel:WORD_1
	v_sub_f16_e32 v11, v1, v5
	v_sub_f16_sdwa v1, v1, v5 dst_sel:DWORD dst_unused:UNUSED_PAD src0_sel:WORD_1 src1_sel:WORD_1
	v_fma_f16 v5, v11, v7, v9
	v_fma_f16 v12, v10, v7, v1
	v_fma_f16 v9, -v11, v7, v9
	v_fma_f16 v1, v10, v7, -v1
	v_fma_f16 v5, -v4, v10, v5
	v_fma_f16 v7, v11, v4, v12
	v_fma_f16 v9, v4, v10, v9
	v_fma_f16 v1, v11, v4, v1
	v_pack_b32_f16 v4, v5, v7
	v_pack_b32_f16 v1, v9, v1
	ds_write_b32 v22, v4 offset:2380
	ds_write_b32 v6, v1 offset:3332
	s_waitcnt lgkmcnt(0)
	s_barrier
	s_barrier
	ds_read2_b32 v[6:7], v22 offset1:84
	ds_read_b32 v32, v22 offset:5376
	ds_read2_b32 v[8:9], v8 offset0:152 offset1:236
	ds_read2_b32 v[12:13], v22 offset0:168 offset1:252
	s_waitcnt lgkmcnt(2)
	v_pk_add_f16 v29, v32, v7
	v_pk_add_f16 v27, v7, v32 neg_lo:[0,1] neg_hi:[0,1]
	v_mul_f16_sdwa v48, v27, s18 dst_sel:DWORD dst_unused:UNUSED_PAD src0_sel:WORD_1 src1_sel:DWORD
	v_lshrrev_b32_e32 v44, 16, v29
	s_waitcnt lgkmcnt(0)
	v_pk_add_f16 v31, v9, v12
	v_pk_add_f16 v28, v12, v9 neg_lo:[0,1] neg_hi:[0,1]
	v_mul_f16_e32 v51, 0x2de8, v44
	v_fma_f16 v1, v29, s7, -v48
	v_mul_f16_sdwa v50, v28, s12 dst_sel:DWORD dst_unused:UNUSED_PAD src0_sel:WORD_1 src1_sel:DWORD
	v_lshrrev_b32_e32 v46, 16, v31
	v_mul_f16_sdwa v53, v27, s10 dst_sel:DWORD dst_unused:UNUSED_PAD src0_sel:WORD_1 src1_sel:DWORD
	v_add_f16_e32 v1, v6, v1
	v_fma_f16 v5, v27, s18, v51
	v_mul_f16_e32 v54, 0xbbdd, v46
	v_fma_f16 v11, v31, s13, -v50
	v_mul_f16_e32 v57, 0xb461, v44
	v_fma_f16 v4, v29, s11, -v53
	v_add_f16_sdwa v5, v6, v5 dst_sel:DWORD dst_unused:UNUSED_PAD src0_sel:WORD_1 src1_sel:DWORD
	v_add_f16_e32 v1, v11, v1
	v_fma_f16 v11, v28, s12, v54
	v_mul_f16_sdwa v58, v28, s23 dst_sel:DWORD dst_unused:UNUSED_PAD src0_sel:WORD_1 src1_sel:DWORD
	v_add_f16_e32 v4, v6, v4
	v_fma_f16 v10, v27, s10, v57
	v_add_f16_e32 v5, v11, v5
	v_fma_f16 v11, v31, s14, -v58
	v_mul_f16_e32 v62, 0xbacd, v46
	v_pk_add_f16 v33, v8, v13
	v_pk_add_f16 v30, v13, v8 neg_lo:[0,1] neg_hi:[0,1]
	v_add_f16_sdwa v10, v6, v10 dst_sel:DWORD dst_unused:UNUSED_PAD src0_sel:WORD_1 src1_sel:DWORD
	v_add_f16_e32 v4, v11, v4
	v_fma_f16 v11, v28, s23, v62
	v_mul_f16_sdwa v55, v30, s24 dst_sel:DWORD dst_unused:UNUSED_PAD src0_sel:WORD_1 src1_sel:DWORD
	v_lshrrev_b32_e32 v47, 16, v33
	v_add_f16_e32 v14, v11, v10
	v_fma_f16 v10, v33, s11, -v55
	v_mul_f16_e32 v59, 0xb461, v47
	v_add_f16_e32 v1, v10, v1
	v_fma_f16 v10, v30, s24, v59
	v_mul_f16_sdwa v63, v30, s15 dst_sel:DWORD dst_unused:UNUSED_PAD src0_sel:WORD_1 src1_sel:DWORD
	v_add_f16_e32 v5, v10, v5
	v_fma_f16 v10, v33, s16, -v63
	v_add_f16_e32 v15, v10, v4
	v_add_u32_e32 v10, 0x400, v22
	v_add_u32_e32 v4, 0xe00, v22
	ds_read2_b32 v[18:19], v10 offset0:80 offset1:164
	ds_read2_b32 v[10:11], v4 offset0:112 offset1:196
	v_mul_f16_e32 v67, 0x39e9, v47
	v_fma_f16 v16, v30, s15, v67
	v_add_f16_e32 v14, v16, v14
	s_waitcnt lgkmcnt(0)
	v_pk_add_f16 v36, v11, v18
	v_pk_add_f16 v34, v18, v11 neg_lo:[0,1] neg_hi:[0,1]
	v_mul_f16_sdwa v60, v34, s17 dst_sel:DWORD dst_unused:UNUSED_PAD src0_sel:WORD_1 src1_sel:DWORD
	v_lshrrev_b32_e32 v49, 16, v36
	v_fma_f16 v16, v36, s19, -v60
	v_mul_f16_e32 v65, 0x3b76, v49
	v_add_f16_e32 v1, v16, v1
	v_fma_f16 v16, v34, s17, v65
	v_mul_f16_sdwa v69, v34, s27 dst_sel:DWORD dst_unused:UNUSED_PAD src0_sel:WORD_1 src1_sel:DWORD
	v_add_f16_e32 v5, v16, v5
	v_fma_f16 v16, v36, s20, -v69
	v_mul_f16_e32 v72, 0x3722, v49
	v_pk_add_f16 v37, v10, v19
	v_pk_add_f16 v35, v19, v10 neg_lo:[0,1] neg_hi:[0,1]
	v_add_f16_e32 v15, v16, v15
	v_fma_f16 v16, v34, s27, v72
	v_mul_f16_sdwa v64, v35, s27 dst_sel:DWORD dst_unused:UNUSED_PAD src0_sel:WORD_1 src1_sel:DWORD
	v_lshrrev_b32_e32 v52, 16, v37
	v_add_f16_e32 v20, v16, v14
	v_fma_f16 v14, v37, s20, -v64
	v_mul_f16_e32 v68, 0x3722, v52
	v_add_f16_e32 v1, v14, v1
	v_fma_f16 v14, v35, s27, v68
	v_mul_f16_sdwa v71, v35, s12 dst_sel:DWORD dst_unused:UNUSED_PAD src0_sel:WORD_1 src1_sel:DWORD
	v_add_f16_e32 v5, v14, v5
	v_fma_f16 v14, v37, s13, -v71
	v_add_f16_e32 v21, v14, v15
	ds_read2_b32 v[16:17], v26 offset0:120 offset1:204
	ds_read2_b32 v[14:15], v25 offset0:72 offset1:156
	v_mul_f16_e32 v77, 0xbbdd, v52
	v_fma_f16 v23, v35, s12, v77
	v_add_f16_e32 v20, v23, v20
	s_waitcnt lgkmcnt(0)
	v_pk_add_f16 v39, v15, v16
	v_pk_add_f16 v38, v16, v15 neg_lo:[0,1] neg_hi:[0,1]
	v_mul_f16_sdwa v70, v38, s21 dst_sel:DWORD dst_unused:UNUSED_PAD src0_sel:WORD_1 src1_sel:DWORD
	v_lshrrev_b32_e32 v56, 16, v39
	v_fma_f16 v23, v39, s14, -v70
	v_mul_f16_e32 v74, 0xbacd, v56
	v_add_f16_e32 v1, v23, v1
	v_fma_f16 v23, v38, s21, v74
	v_mul_f16_sdwa v75, v38, s22 dst_sel:DWORD dst_unused:UNUSED_PAD src0_sel:WORD_1 src1_sel:DWORD
	v_add_f16_e32 v5, v23, v5
	v_fma_f16 v23, v39, s7, -v75
	v_mul_f16_e32 v79, 0x2de8, v56
	v_pk_add_f16 v41, v14, v17
	v_pk_add_f16 v40, v17, v14 neg_lo:[0,1] neg_hi:[0,1]
	v_add_f16_e32 v23, v23, v21
	v_fma_f16 v21, v38, s22, v79
	v_mul_f16_sdwa v73, v40, s30 dst_sel:DWORD dst_unused:UNUSED_PAD src0_sel:WORD_1 src1_sel:DWORD
	v_lshrrev_b32_e32 v61, 16, v41
	v_add_f16_e32 v24, v21, v20
	v_fma_f16 v20, v41, s25, -v73
	v_mul_f16_e32 v76, 0xb8d2, v61
	v_add_f16_e32 v1, v20, v1
	v_fma_f16 v20, v40, s30, v76
	v_add_f16_e32 v5, v20, v5
	v_add_u32_e32 v20, 0x800, v22
	ds_read2_b32 v[20:21], v20 offset0:160 offset1:244
	v_mul_f16_sdwa v80, v40, s29 dst_sel:DWORD dst_unused:UNUSED_PAD src0_sel:WORD_1 src1_sel:DWORD
	v_fma_f16 v42, v41, s19, -v80
	v_add_f16_e32 v45, v42, v23
	v_mul_f16_e32 v82, 0x3b76, v61
	s_waitcnt lgkmcnt(0)
	v_pk_add_f16 v43, v21, v20
	v_pk_add_f16 v42, v20, v21 neg_lo:[0,1] neg_hi:[0,1]
	v_fma_f16 v23, v40, s29, v82
	v_mul_f16_sdwa v78, v42, s15 dst_sel:DWORD dst_unused:UNUSED_PAD src0_sel:WORD_1 src1_sel:DWORD
	v_lshrrev_b32_e32 v66, 16, v43
	v_add_f16_e32 v24, v23, v24
	v_fma_f16 v23, v43, s16, -v78
	v_mul_f16_e32 v81, 0x39e9, v66
	v_add_f16_e32 v1, v23, v1
	v_fma_f16 v23, v42, s15, v81
	v_mul_f16_e32 v84, 0xb8d2, v66
	v_add_f16_e32 v23, v23, v5
	v_fma_f16 v5, v42, s26, v84
	v_mul_f16_sdwa v83, v42, s26 dst_sel:DWORD dst_unused:UNUSED_PAD src0_sel:WORD_1 src1_sel:DWORD
	v_add_f16_e32 v24, v5, v24
	v_fma_f16 v5, v43, s25, -v83
	v_add_f16_e32 v5, v5, v45
	s_barrier
	s_and_saveexec_b64 s[4:5], vcc
	s_cbranch_execz .LBB0_19
; %bb.18:
	v_mul_f16_e32 v91, 0xba62, v27
	v_fma_f16 v45, v44, s25, v91
	v_mul_f16_e32 v92, 0x3bb2, v28
	v_add_f16_sdwa v45, v6, v45 dst_sel:DWORD dst_unused:UNUSED_PAD src0_sel:WORD_1 src1_sel:DWORD
	v_fma_f16 v93, v46, s11, v92
	v_add_f16_e32 v45, v93, v45
	v_mul_f16_e32 v93, 0xb5c8, v30
	v_fma_f16 v94, v47, s19, v93
	v_add_f16_e32 v45, v94, v45
	v_mul_f16_e32 v94, 0xb836, v34
	v_fma_f16 v95, v49, s14, v94
	v_add_f16_e32 v45, v95, v45
	v_mul_f16_e32 v95, 0x3bf7, v35
	v_fma_f16 v96, v52, s7, v95
	v_add_f16_e32 v45, v96, v45
	v_mul_f16_e32 v96, 0xb964, v38
	v_fma_f16 v97, v56, s16, v96
	v_add_f16_e32 v45, v97, v45
	v_mul_f16_e32 v97, 0xb1e1, v40
	v_fma_f16 v98, v61, s13, v97
	v_add_f16_e32 v45, v98, v45
	v_mul_f16_e32 v98, 0x3b29, v42
	v_fma_f16 v99, v66, s20, v98
	v_add_f16_e32 v45, v99, v45
	v_mul_f16_sdwa v99, v27, s26 dst_sel:DWORD dst_unused:UNUSED_PAD src0_sel:WORD_1 src1_sel:DWORD
	v_fma_f16 v100, v29, s25, -v99
	v_mul_f16_sdwa v101, v28, s24 dst_sel:DWORD dst_unused:UNUSED_PAD src0_sel:WORD_1 src1_sel:DWORD
	v_add_f16_e32 v100, v6, v100
	v_fma_f16 v102, v31, s11, -v101
	v_add_f16_e32 v100, v102, v100
	v_mul_f16_sdwa v102, v30, s29 dst_sel:DWORD dst_unused:UNUSED_PAD src0_sel:WORD_1 src1_sel:DWORD
	v_fma_f16 v103, v33, s19, -v102
	v_add_f16_e32 v100, v103, v100
	v_mul_f16_sdwa v103, v34, s21 dst_sel:DWORD dst_unused:UNUSED_PAD src0_sel:WORD_1 src1_sel:DWORD
	;; [unrolled: 3-line block ×3, first 2 shown]
	s_mov_b32 s31, 0xb964
	v_fma_f16 v105, v37, s7, -v104
	v_add_f16_e32 v100, v105, v100
	v_mul_f16_sdwa v105, v38, s31 dst_sel:DWORD dst_unused:UNUSED_PAD src0_sel:WORD_1 src1_sel:DWORD
	v_fma_f16 v106, v39, s16, -v105
	v_add_f16_e32 v100, v106, v100
	v_mul_f16_sdwa v106, v40, s12 dst_sel:DWORD dst_unused:UNUSED_PAD src0_sel:WORD_1 src1_sel:DWORD
	s_movk_i32 s28, 0x3b29
	v_fma_f16 v107, v41, s13, -v106
	v_add_f16_e32 v100, v107, v100
	v_mul_f16_sdwa v107, v42, s28 dst_sel:DWORD dst_unused:UNUSED_PAD src0_sel:WORD_1 src1_sel:DWORD
	v_fma_f16 v108, v43, s20, -v107
	v_add_f16_e32 v100, v108, v100
	v_mul_f16_e32 v108, 0xb836, v27
	v_fma_f16 v109, v44, s14, v108
	v_mul_f16_e32 v110, 0x3b29, v28
	v_add_f16_sdwa v109, v6, v109 dst_sel:DWORD dst_unused:UNUSED_PAD src0_sel:WORD_1 src1_sel:DWORD
	v_fma_f16 v111, v46, s20, v110
	v_add_f16_e32 v109, v111, v109
	v_mul_f16_e32 v111, 0xbbf7, v30
	v_fma_f16 v112, v47, s7, v111
	v_add_f16_e32 v109, v112, v109
	v_mul_f16_e32 v112, 0x3a62, v34
	;; [unrolled: 3-line block ×6, first 2 shown]
	v_fma_f16 v117, v66, s11, v116
	v_add_f16_e32 v109, v117, v109
	v_mul_f16_sdwa v117, v27, s21 dst_sel:DWORD dst_unused:UNUSED_PAD src0_sel:WORD_1 src1_sel:DWORD
	v_fma_f16 v118, v29, s14, -v117
	v_mul_f16_sdwa v119, v28, s28 dst_sel:DWORD dst_unused:UNUSED_PAD src0_sel:WORD_1 src1_sel:DWORD
	v_add_f16_e32 v118, v6, v118
	v_fma_f16 v120, v31, s20, -v119
	v_add_f16_e32 v118, v120, v118
	v_mul_f16_sdwa v120, v30, s18 dst_sel:DWORD dst_unused:UNUSED_PAD src0_sel:WORD_1 src1_sel:DWORD
	v_fma_f16 v121, v33, s7, -v120
	v_add_f16_e32 v118, v121, v118
	v_mul_f16_sdwa v121, v34, s30 dst_sel:DWORD dst_unused:UNUSED_PAD src0_sel:WORD_1 src1_sel:DWORD
	;; [unrolled: 3-line block ×3, first 2 shown]
	v_fma_f16 v123, v37, s19, -v122
	v_fma_f16 v108, v44, s14, -v108
	v_add_f16_e32 v118, v123, v118
	v_mul_f16_sdwa v123, v38, s12 dst_sel:DWORD dst_unused:UNUSED_PAD src0_sel:WORD_1 src1_sel:DWORD
	v_add_f16_sdwa v108, v6, v108 dst_sel:DWORD dst_unused:UNUSED_PAD src0_sel:WORD_1 src1_sel:DWORD
	v_fma_f16 v110, v46, s20, -v110
	v_fma_f16 v117, v29, s14, v117
	v_fma_f16 v124, v39, s13, -v123
	v_add_f16_e32 v108, v110, v108
	v_fma_f16 v111, v47, s7, -v111
	v_add_f16_e32 v117, v6, v117
	v_fma_f16 v119, v31, s20, v119
	v_add_f16_e32 v118, v124, v118
	v_mul_f16_sdwa v124, v40, s15 dst_sel:DWORD dst_unused:UNUSED_PAD src0_sel:WORD_1 src1_sel:DWORD
	v_add_f16_e32 v108, v111, v108
	v_fma_f16 v112, v49, s25, -v112
	v_add_f16_e32 v117, v119, v117
	v_fma_f16 v120, v33, s7, v120
	v_mul_f16_e32 v85, 0x2de8, v29
	v_fma_f16 v125, v41, s16, -v124
	v_add_f16_e32 v108, v112, v108
	v_fma_f16 v113, v52, s19, -v113
	v_add_f16_e32 v117, v120, v117
	v_fma_f16 v121, v36, s25, v121
	v_mul_f16_e32 v86, 0xbbf7, v27
	v_mul_f16_e32 v89, 0xbbdd, v31
	v_add_f16_e32 v118, v125, v118
	v_mul_f16_sdwa v125, v42, s10 dst_sel:DWORD dst_unused:UNUSED_PAD src0_sel:WORD_1 src1_sel:DWORD
	v_add_f16_e32 v108, v113, v108
	v_fma_f16 v114, v56, s13, -v114
	v_add_f16_e32 v117, v121, v117
	v_fma_f16 v122, v37, s19, v122
	v_fma_f16 v91, v44, s25, -v91
	v_add_f16_e32 v48, v85, v48
	v_mul_f16_e32 v87, 0xb461, v29
	v_mul_f16_e32 v90, 0xb1e1, v28
	v_fma_f16 v126, v43, s11, -v125
	v_mul_f16_e32 v111, 0xb461, v33
	v_add_f16_e32 v108, v114, v108
	v_fma_f16 v115, v61, s16, -v115
	v_add_f16_e32 v117, v122, v117
	v_fma_f16 v123, v39, s13, v123
	v_add_f16_sdwa v91, v6, v91 dst_sel:DWORD dst_unused:UNUSED_PAD src0_sel:WORD_1 src1_sel:DWORD
	v_fma_f16 v92, v46, s11, -v92
	v_sub_f16_e32 v51, v51, v86
	v_add_f16_e32 v48, v6, v48
	v_add_f16_e32 v50, v89, v50
	;; [unrolled: 1-line block ×3, first 2 shown]
	v_mul_f16_e32 v126, 0xbacd, v31
	v_mul_f16_e32 v112, 0x3bb2, v30
	v_add_f16_e32 v108, v115, v108
	v_mul_f16_e32 v115, 0x3b76, v36
	v_fma_f16 v116, v66, s11, -v116
	v_add_f16_e32 v117, v123, v117
	v_fma_f16 v124, v41, s16, v124
	v_add_f16_e32 v91, v92, v91
	v_fma_f16 v93, v47, s19, -v93
	v_add_f16_e32 v53, v87, v53
	v_add_f16_sdwa v51, v6, v51 dst_sel:DWORD dst_unused:UNUSED_PAD src0_sel:WORD_1 src1_sel:DWORD
	v_sub_f16_e32 v54, v54, v90
	v_add_f16_e32 v48, v50, v48
	v_add_f16_e32 v50, v111, v55
	v_mul_f16_e32 v113, 0x39e9, v33
	v_add_f16_e32 v108, v116, v108
	v_mul_f16_e32 v116, 0x35c8, v34
	v_mul_f16_e32 v121, 0x3722, v37
	v_add_f16_e32 v117, v124, v117
	v_fma_f16 v125, v43, s11, v125
	v_add_f16_e32 v91, v93, v91
	v_fma_f16 v94, v49, s14, -v94
	v_add_f16_e32 v53, v6, v53
	v_add_f16_e32 v58, v126, v58
	;; [unrolled: 1-line block ×3, first 2 shown]
	v_sub_f16_e32 v54, v59, v112
	v_add_f16_e32 v48, v50, v48
	v_add_f16_e32 v50, v115, v60
	v_mul_f16_e32 v119, 0x3722, v36
	v_mul_f16_e32 v122, 0xbb29, v35
	v_add_f16_e32 v117, v125, v117
	v_mul_f16_e32 v125, 0xbacd, v39
	v_add_f16_e32 v91, v94, v91
	v_fma_f16 v95, v52, s7, -v95
	v_fma_f16 v99, v29, s25, v99
	v_add_f16_e32 v53, v58, v53
	v_add_f16_e32 v58, v113, v63
	;; [unrolled: 1-line block ×3, first 2 shown]
	v_sub_f16_e32 v54, v65, v116
	v_add_f16_e32 v48, v50, v48
	v_add_f16_e32 v50, v121, v64
	v_mul_f16_e32 v123, 0xbbdd, v37
	v_mul_f16_e32 v92, 0xb836, v38
	v_add_f16_e32 v91, v95, v91
	v_mul_f16_e32 v95, 0xb8d2, v41
	v_fma_f16 v96, v56, s16, -v96
	v_add_f16_e32 v99, v6, v99
	v_fma_f16 v101, v31, s11, v101
	v_add_f16_e32 v53, v58, v53
	v_add_f16_e32 v58, v119, v69
	;; [unrolled: 1-line block ×3, first 2 shown]
	v_sub_f16_e32 v54, v68, v122
	v_add_f16_e32 v48, v50, v48
	v_add_f16_e32 v50, v125, v70
	v_mul_f16_e32 v93, 0x2de8, v39
	v_add_f16_e32 v91, v96, v91
	v_mul_f16_e32 v96, 0x3a62, v40
	v_fma_f16 v97, v61, s13, -v97
	v_add_f16_e32 v99, v101, v99
	v_mul_f16_e32 v101, 0x39e9, v43
	v_fma_f16 v102, v33, s19, v102
	v_add_f16_e32 v53, v58, v53
	v_add_f16_e32 v58, v123, v71
	;; [unrolled: 1-line block ×3, first 2 shown]
	v_sub_f16_e32 v54, v74, v92
	v_add_f16_e32 v48, v50, v48
	v_add_f16_e32 v50, v95, v73
	v_mul_f16_e32 v88, 0xbbb2, v27
	v_add_f16_e32 v91, v97, v91
	v_mul_f16_e32 v97, 0x3b76, v41
	;; [unrolled: 2-line block ×3, first 2 shown]
	v_fma_f16 v103, v36, s14, v103
	v_add_f16_e32 v53, v58, v53
	v_add_f16_e32 v58, v93, v75
	;; [unrolled: 1-line block ×3, first 2 shown]
	v_sub_f16_e32 v54, v76, v96
	v_add_f16_e32 v48, v50, v48
	v_add_f16_e32 v50, v101, v78
	v_mul_f16_e32 v110, 0x3836, v28
	v_add_f16_e32 v99, v103, v99
	v_mul_f16_e32 v103, 0xb8d2, v43
	v_sub_f16_e32 v57, v57, v88
	v_add_f16_e32 v53, v58, v53
	v_add_f16_e32 v58, v97, v80
	;; [unrolled: 1-line block ×3, first 2 shown]
	v_sub_f16_e32 v54, v81, v102
	v_add_f16_e32 v48, v50, v48
	v_mul_f16_e32 v50, 0x3722, v44
	v_mul_f16_e32 v114, 0x3964, v30
	v_add_f16_sdwa v57, v6, v57 dst_sel:DWORD dst_unused:UNUSED_PAD src0_sel:WORD_1 src1_sel:DWORD
	v_sub_f16_e32 v62, v62, v110
	v_add_f16_e32 v53, v58, v53
	v_add_f16_e32 v58, v103, v83
	;; [unrolled: 1-line block ×3, first 2 shown]
	v_fma_f16 v54, v27, s28, v50
	v_mul_f16_e32 v55, 0xb8d2, v46
	v_mul_f16_e32 v120, 0xbb29, v34
	v_add_f16_e32 v57, v62, v57
	v_sub_f16_e32 v62, v67, v114
	v_add_f16_e32 v53, v58, v53
	v_add_f16_sdwa v54, v6, v54 dst_sel:DWORD dst_unused:UNUSED_PAD src0_sel:WORD_1 src1_sel:DWORD
	v_fma_f16 v58, v28, s30, v55
	v_mul_f16_e32 v124, 0xb1e1, v35
	v_add_f16_e32 v57, v62, v57
	v_sub_f16_e32 v62, v72, v120
	v_add_f16_e32 v54, v58, v54
	v_mul_f16_e32 v58, 0xbbdd, v47
	v_mul_f16_e32 v94, 0x3bf7, v38
	v_fma_f16 v98, v66, s20, -v98
	v_add_f16_e32 v57, v62, v57
	v_sub_f16_e32 v62, v77, v124
	v_fma_f16 v59, v30, s12, v58
	v_add_f16_e32 v91, v98, v91
	v_mul_f16_e32 v98, 0xb5c8, v40
	v_fma_f16 v104, v37, s7, v104
	v_add_f16_e32 v57, v62, v57
	v_sub_f16_e32 v62, v79, v94
	v_add_f16_e32 v54, v59, v54
	v_mul_f16_e32 v59, 0xb461, v49
	v_add_f16_e32 v99, v104, v99
	v_mul_f16_e32 v104, 0xba62, v42
	v_add_f16_e32 v57, v62, v57
	v_sub_f16_e32 v62, v82, v98
	v_fma_f16 v60, v34, s10, v59
	v_add_f16_e32 v57, v62, v57
	v_sub_f16_e32 v62, v84, v104
	v_add_f16_e32 v54, v60, v54
	v_mul_f16_e32 v60, 0x39e9, v52
	v_add_f16_e32 v57, v62, v57
	v_fma_f16 v62, v35, s31, v60
	v_add_f16_e32 v54, v62, v54
	v_mul_f16_e32 v62, 0x3b76, v56
	v_fma_f16 v63, v38, s17, v62
	v_add_f16_e32 v54, v63, v54
	v_mul_f16_e32 v63, 0x2de8, v61
	;; [unrolled: 3-line block ×3, first 2 shown]
	v_fma_f16 v65, v42, s23, v64
	v_add_f16_e32 v54, v65, v54
	v_mul_f16_sdwa v65, v27, s27 dst_sel:DWORD dst_unused:UNUSED_PAD src0_sel:WORD_1 src1_sel:DWORD
	v_fma_f16 v67, v29, s20, v65
	v_mul_f16_sdwa v68, v28, s26 dst_sel:DWORD dst_unused:UNUSED_PAD src0_sel:WORD_1 src1_sel:DWORD
	v_add_f16_e32 v67, v6, v67
	v_fma_f16 v69, v31, s25, v68
	s_movk_i32 s33, 0x31e1
	v_add_f16_e32 v67, v69, v67
	v_mul_f16_sdwa v69, v30, s33 dst_sel:DWORD dst_unused:UNUSED_PAD src0_sel:WORD_1 src1_sel:DWORD
	v_fma_f16 v70, v33, s13, v69
	v_add_f16_e32 v67, v70, v67
	v_mul_f16_sdwa v70, v34, s24 dst_sel:DWORD dst_unused:UNUSED_PAD src0_sel:WORD_1 src1_sel:DWORD
	v_fma_f16 v71, v36, s11, v70
	;; [unrolled: 3-line block ×6, first 2 shown]
	v_mul_f16_e32 v44, 0x39e9, v44
	v_add_f16_e32 v67, v75, v67
	v_fma_f16 v75, v27, s15, v44
	v_mul_f16_e32 v46, 0x2de8, v46
	v_add_f16_sdwa v75, v6, v75 dst_sel:DWORD dst_unused:UNUSED_PAD src0_sel:WORD_1 src1_sel:DWORD
	v_fma_f16 v76, v28, s22, v46
	v_mul_f16_e32 v47, 0xb8d2, v47
	v_add_f16_e32 v75, v76, v75
	v_fma_f16 v76, v30, s30, v47
	v_mul_f16_e32 v49, 0xbbdd, v49
	v_add_f16_e32 v75, v76, v75
	;; [unrolled: 3-line block ×5, first 2 shown]
	v_fma_f16 v76, v40, s27, v61
	v_mul_f16_e32 v66, 0x3b76, v66
	v_pk_add_f16 v7, v6, v7
	v_add_f16_e32 v75, v76, v75
	v_fma_f16 v76, v42, s29, v66
	v_pk_add_f16 v7, v7, v12
	v_fma_f16 v12, v27, s27, v50
	v_add_f16_e32 v75, v76, v75
	v_mul_f16_sdwa v76, v27, s31 dst_sel:DWORD dst_unused:UNUSED_PAD src0_sel:WORD_1 src1_sel:DWORD
	v_pk_add_f16 v7, v7, v13
	v_add_f16_sdwa v12, v6, v12 dst_sel:DWORD dst_unused:UNUSED_PAD src0_sel:WORD_1 src1_sel:DWORD
	v_fma_f16 v13, v28, s26, v55
	v_fma_f16 v77, v29, s16, v76
	v_mul_f16_sdwa v78, v28, s18 dst_sel:DWORD dst_unused:UNUSED_PAD src0_sel:WORD_1 src1_sel:DWORD
	v_add_f16_e32 v12, v13, v12
	v_fma_f16 v13, v30, s33, v58
	v_add_f16_e32 v77, v6, v77
	v_fma_f16 v79, v31, s7, v78
	;; [unrolled: 2-line block ×3, first 2 shown]
	v_add_f16_e32 v77, v79, v77
	v_mul_f16_sdwa v79, v30, s26 dst_sel:DWORD dst_unused:UNUSED_PAD src0_sel:WORD_1 src1_sel:DWORD
	v_add_f16_e32 v12, v13, v12
	v_fma_f16 v13, v35, s15, v60
	v_fma_f16 v80, v33, s25, v79
	v_add_f16_e32 v12, v13, v12
	v_fma_f16 v13, v38, s29, v62
	v_add_f16_e32 v77, v80, v77
	v_mul_f16_sdwa v80, v34, s12 dst_sel:DWORD dst_unused:UNUSED_PAD src0_sel:WORD_1 src1_sel:DWORD
	v_pk_add_f16 v7, v7, v18
	v_add_f16_e32 v12, v13, v12
	v_fma_f16 v13, v40, s18, v63
	v_fma_f16 v81, v36, s13, v80
	v_pk_add_f16 v7, v7, v19
	v_add_f16_e32 v12, v13, v12
	v_fma_f16 v13, v42, s21, v64
	v_add_f16_e32 v77, v81, v77
	v_mul_f16_sdwa v81, v35, s23 dst_sel:DWORD dst_unused:UNUSED_PAD src0_sel:WORD_1 src1_sel:DWORD
	v_add_f16_e32 v12, v13, v12
	v_fma_f16 v13, v29, s20, -v65
	v_pk_add_f16 v7, v7, v16
	v_fma_f16 v82, v37, s14, v81
	v_add_f16_e32 v13, v6, v13
	v_fma_f16 v18, v31, s25, -v68
	v_pk_add_f16 v7, v7, v17
	v_add_f16_e32 v77, v82, v77
	v_mul_f16_sdwa v82, v38, s24 dst_sel:DWORD dst_unused:UNUSED_PAD src0_sel:WORD_1 src1_sel:DWORD
	v_add_f16_e32 v13, v18, v13
	v_fma_f16 v18, v33, s13, -v69
	v_pk_add_f16 v7, v7, v20
	v_fma_f16 v83, v39, s11, v82
	v_add_f16_e32 v13, v18, v13
	v_fma_f16 v18, v36, s11, -v70
	v_pk_add_f16 v7, v7, v21
	;; [unrolled: 9-line block ×4, first 2 shown]
	v_add_f16_e32 v77, v85, v77
	v_pk_mul_f16 v85, v27, s29 op_sel_hi:[1,0]
	v_add_f16_e32 v13, v18, v13
	v_fma_f16 v18, v27, s31, v44
	v_pk_add_f16 v7, v7, v8
	v_pk_mul_f16 v86, v28, s31 op_sel_hi:[1,0]
	v_pk_mul_f16 v88, v34, s18 op_sel_hi:[1,0]
	v_add_f16_sdwa v18, v6, v18 dst_sel:DWORD dst_unused:UNUSED_PAD src0_sel:WORD_1 src1_sel:DWORD
	v_fma_f16 v19, v28, s18, v46
	v_pk_add_f16 v7, v7, v9
	v_pk_fma_f16 v8, v29, s19, v85 op_sel:[0,0,1] op_sel_hi:[1,0,0]
	v_pk_fma_f16 v9, v29, s19, v85 op_sel:[0,0,1] op_sel_hi:[1,0,0] neg_lo:[0,0,1] neg_hi:[0,0,1]
	s_mov_b32 s18, 0xffff
	v_add_f16_e32 v18, v19, v18
	v_fma_f16 v19, v30, s26, v47
	v_bfi_b32 v10, s18, v8, v9
	v_pk_fma_f16 v11, v31, s16, v86 op_sel:[0,0,1] op_sel_hi:[1,0,0]
	v_pk_fma_f16 v14, v31, s16, v86 op_sel:[0,0,1] op_sel_hi:[1,0,0] neg_lo:[0,0,1] neg_hi:[0,0,1]
	v_pk_mul_f16 v87, v30, s27 op_sel_hi:[1,0]
	v_add_f16_e32 v18, v19, v18
	v_fma_f16 v19, v34, s12, v49
	v_pk_add_f16 v10, v6, v10
	v_bfi_b32 v15, s18, v11, v14
	v_add_f16_e32 v18, v19, v18
	v_fma_f16 v19, v35, s23, v52
	v_pk_add_f16 v10, v15, v10
	v_pk_fma_f16 v15, v33, s20, v87 op_sel:[0,0,1] op_sel_hi:[1,0,0]
	v_pk_fma_f16 v16, v33, s20, v87 op_sel:[0,0,1] op_sel_hi:[1,0,0] neg_lo:[0,0,1] neg_hi:[0,0,1]
	v_add_f16_e32 v18, v19, v18
	v_fma_f16 v19, v38, s24, v56
	v_bfi_b32 v17, s18, v15, v16
	v_add_f16_e32 v18, v19, v18
	v_fma_f16 v19, v40, s28, v61
	v_pk_add_f16 v10, v17, v10
	v_pk_fma_f16 v17, v36, s7, v88 op_sel:[0,0,1] op_sel_hi:[1,0,0]
	v_pk_fma_f16 v20, v36, s7, v88 op_sel:[0,0,1] op_sel_hi:[1,0,0] neg_lo:[0,0,1] neg_hi:[0,0,1]
	v_pk_mul_f16 v89, v35, s10 op_sel_hi:[1,0]
	v_add_f16_e32 v18, v19, v18
	v_fma_f16 v19, v42, s17, v66
	v_bfi_b32 v21, s18, v17, v20
	v_add_f16_e32 v18, v19, v18
	v_fma_f16 v19, v29, s16, -v76
	v_pk_add_f16 v7, v7, v32
	v_pk_add_f16 v10, v21, v10
	v_pk_fma_f16 v21, v37, s11, v89 op_sel:[0,0,1] op_sel_hi:[1,0,0]
	v_pk_fma_f16 v32, v37, s11, v89 op_sel:[0,0,1] op_sel_hi:[1,0,0] neg_lo:[0,0,1] neg_hi:[0,0,1]
	v_pk_mul_f16 v90, v38, s26 op_sel_hi:[1,0]
	v_add_f16_e32 v19, v6, v19
	v_fma_f16 v44, v31, s7, -v78
	v_bfi_b32 v46, s18, v21, v32
	v_add_f16_e32 v19, v44, v19
	v_fma_f16 v44, v33, s25, -v79
	v_pk_add_f16 v10, v46, v10
	v_pk_fma_f16 v46, v39, s25, v90 op_sel:[0,0,1] op_sel_hi:[1,0,0]
	v_pk_fma_f16 v47, v39, s25, v90 op_sel:[0,0,1] op_sel_hi:[1,0,0] neg_lo:[0,0,1] neg_hi:[0,0,1]
	v_pk_mul_f16 v92, v40, s21 op_sel_hi:[1,0]
	v_add_f16_e32 v19, v44, v19
	v_fma_f16 v44, v36, s13, -v80
	v_bfi_b32 v49, s18, v46, v47
	v_add_f16_e32 v19, v44, v19
	v_fma_f16 v44, v37, s14, -v81
	v_pk_add_f16 v10, v49, v10
	v_pk_fma_f16 v49, v41, s14, v92 op_sel:[0,0,1] op_sel_hi:[1,0,0]
	v_pk_fma_f16 v50, v41, s14, v92 op_sel:[0,0,1] op_sel_hi:[1,0,0] neg_lo:[0,0,1] neg_hi:[0,0,1]
	v_pk_mul_f16 v93, v42, s12 op_sel_hi:[1,0]
	v_add_f16_e32 v19, v44, v19
	v_fma_f16 v44, v39, s11, -v82
	v_bfi_b32 v52, s18, v49, v50
	v_add_f16_e32 v19, v44, v19
	v_fma_f16 v44, v41, s20, -v83
	v_pk_add_f16 v10, v52, v10
	v_pk_fma_f16 v52, v43, s13, v93 op_sel:[0,0,1] op_sel_hi:[1,0,0]
	v_pk_fma_f16 v55, v43, s13, v93 op_sel:[0,0,1] op_sel_hi:[1,0,0] neg_lo:[0,0,1] neg_hi:[0,0,1]
	v_fma_f16 v105, v39, s16, v105
	v_add_f16_e32 v19, v44, v19
	v_fma_f16 v44, v43, s19, -v84
	v_bfi_b32 v56, s18, v52, v55
	v_add_f16_e32 v99, v105, v99
	v_fma_f16 v105, v41, s13, v106
	v_add_f16_e32 v19, v44, v19
	v_lshl_add_u32 v44, v0, 6, v22
	v_pk_add_f16 v10, v56, v10
	v_add_f16_e32 v99, v105, v99
	v_fma_f16 v105, v43, s20, v107
	ds_write2_b32 v44, v7, v10 offset1:1
	v_pack_b32_f16 v7, v67, v54
	v_pack_b32_f16 v10, v77, v75
	v_add_f16_e32 v99, v105, v99
	ds_write2_b32 v44, v10, v7 offset0:2 offset1:3
	v_pack_b32_f16 v7, v53, v57
	v_pack_b32_f16 v10, v48, v51
	ds_write2_b32 v44, v10, v7 offset0:4 offset1:5
	v_pack_b32_f16 v7, v117, v108
	v_pack_b32_f16 v10, v99, v91
	ds_write2_b32 v44, v10, v7 offset0:6 offset1:7
	v_pk_mul_f16 v7, v29, s13 op_sel_hi:[1,0]
	v_pk_fma_f16 v10, v27, s12, v7 op_sel:[0,0,1] op_sel_hi:[1,0,0]
	v_pk_mul_f16 v31, v31, s19 op_sel_hi:[1,0]
	v_pk_fma_f16 v7, v27, s12, v7 op_sel:[0,0,1] op_sel_hi:[1,0,0] neg_lo:[1,0,0] neg_hi:[1,0,0]
	v_pk_mul_f16 v33, v33, s14 op_sel_hi:[1,0]
	v_pk_add_f16 v7, v6, v7 op_sel:[1,0] op_sel_hi:[0,1]
	v_pk_fma_f16 v27, v28, s17, v31 op_sel:[0,0,1] op_sel_hi:[1,0,0] neg_lo:[1,0,0] neg_hi:[1,0,0]
	v_pk_mul_f16 v36, v36, s16 op_sel_hi:[1,0]
	v_pk_add_f16 v7, v27, v7
	v_pk_fma_f16 v27, v30, s21, v33 op_sel:[0,0,1] op_sel_hi:[1,0,0] neg_lo:[1,0,0] neg_hi:[1,0,0]
	v_pk_mul_f16 v37, v37, s25 op_sel_hi:[1,0]
	v_pk_add_f16 v7, v27, v7
	;; [unrolled: 3-line block ×4, first 2 shown]
	v_pk_fma_f16 v27, v38, s28, v39 op_sel:[0,0,1] op_sel_hi:[1,0,0] neg_lo:[1,0,0] neg_hi:[1,0,0]
	v_alignbit_b32 v29, s0, v6, 16
	v_pk_mul_f16 v43, v43, s7 op_sel_hi:[1,0]
	v_pk_add_f16 v7, v27, v7
	v_pk_fma_f16 v27, v40, s10, v41 op_sel:[0,0,1] op_sel_hi:[1,0,0] neg_lo:[1,0,0] neg_hi:[1,0,0]
	v_pk_add_f16 v29, v29, v10
	v_pk_fma_f16 v48, v28, s17, v31 op_sel:[0,0,1] op_sel_hi:[1,0,0]
	v_pk_add_f16 v7, v27, v7
	v_pk_fma_f16 v27, v42, s22, v43 op_sel:[0,0,1] op_sel_hi:[1,0,0] neg_lo:[1,0,0] neg_hi:[1,0,0]
	v_alignbit_b32 v10, s0, v10, 16
	v_pk_fma_f16 v51, v30, s21, v33 op_sel:[0,0,1] op_sel_hi:[1,0,0]
	v_pk_add_f16 v7, v27, v7
	v_pk_add_f16 v10, v6, v10
	v_alignbit_b32 v27, s0, v48, 16
	v_pk_add_f16 v29, v48, v29
	v_pk_fma_f16 v53, v34, s15, v36 op_sel:[0,0,1] op_sel_hi:[1,0,0]
	v_pk_add_f16 v10, v27, v10
	v_alignbit_b32 v27, s0, v51, 16
	v_pk_add_f16 v29, v51, v29
	v_pk_fma_f16 v54, v35, s26, v37 op_sel:[0,0,1] op_sel_hi:[1,0,0]
	;; [unrolled: 4-line block ×5, first 2 shown]
	v_pk_add_f16 v10, v27, v10
	v_alignbit_b32 v27, s0, v57, 16
	v_pk_add_f16 v29, v57, v29
	v_pk_add_f16 v10, v27, v10
	v_alignbit_b32 v27, s0, v58, 16
	v_pk_add_f16 v29, v58, v29
	v_pk_add_f16 v10, v27, v10
	v_alignbit_b32 v27, v29, v7, 16
	v_pack_b32_f16 v7, v10, v7
	ds_write2_b32 v44, v7, v27 offset0:8 offset1:9
	v_pack_b32_f16 v7, v100, v45
	v_pack_b32_f16 v10, v118, v109
	ds_write2_b32 v44, v10, v7 offset0:10 offset1:11
	v_perm_b32 v7, v23, v1, s6
	v_perm_b32 v10, v24, v5, s6
	ds_write2_b32 v44, v10, v7 offset0:12 offset1:13
	v_pack_b32_f16 v7, v19, v18
	v_pack_b32_f16 v10, v13, v12
	ds_write2_b32 v44, v10, v7 offset0:14 offset1:15
	v_bfi_b32 v7, s18, v9, v8
	v_pk_add_f16 v6, v6, v7
	v_bfi_b32 v7, s18, v14, v11
	v_pk_add_f16 v6, v7, v6
	;; [unrolled: 2-line block ×8, first 2 shown]
	ds_write_b32 v44, v6 offset:64
.LBB0_19:
	s_or_b64 exec, exec, s[4:5]
	v_add_u32_e32 v6, 0xee, v0
	s_mov_b32 s4, 0xf0f1
	v_mul_u32_u24_sdwa v10, v6, s4 dst_sel:DWORD dst_unused:UNUSED_PAD src0_sel:WORD_0 src1_sel:DWORD
	v_lshrrev_b32_e32 v18, 20, v10
	v_add_u32_e32 v7, 0x165, v0
	v_mul_lo_u16_e32 v10, 17, v18
	v_sub_u16_e32 v6, v6, v10
	v_mul_u32_u24_sdwa v10, v7, s4 dst_sel:DWORD dst_unused:UNUSED_PAD src0_sel:WORD_0 src1_sel:DWORD
	v_lshrrev_b32_e32 v28, 20, v10
	v_add_u32_e32 v8, 0x1dc, v0
	v_mul_lo_u16_e32 v10, 17, v28
	v_sub_u16_e32 v7, v7, v10
	;; [unrolled: 5-line block ×3, first 2 shown]
	v_mul_u32_u24_sdwa v10, v9, s4 dst_sel:DWORD dst_unused:UNUSED_PAD src0_sel:WORD_0 src1_sel:DWORD
	v_lshrrev_b32_e32 v30, 20, v10
	v_mul_lo_u16_e32 v10, 17, v30
	s_movk_i32 s4, 0xf1
	v_add_u16_e32 v16, 0x77, v0
	v_sub_u16_e32 v9, v9, v10
	v_mul_lo_u16_sdwa v17, v16, s4 dst_sel:DWORD dst_unused:UNUSED_PAD src0_sel:BYTE_0 src1_sel:DWORD
	v_lshlrev_b32_e32 v31, 2, v9
	v_lshrrev_b16_e32 v39, 12, v17
	s_waitcnt lgkmcnt(0)
	s_barrier
	global_load_dword v32, v31, s[8:9]
	v_lshlrev_b32_e32 v33, 2, v6
	v_lshlrev_b32_e32 v35, 2, v8
	v_mul_lo_u16_e32 v6, 17, v39
	v_mul_lo_u16_sdwa v27, v0, s4 dst_sel:DWORD dst_unused:UNUSED_PAD src0_sel:BYTE_0 src1_sel:DWORD
	v_lshlrev_b32_e32 v34, 2, v7
	global_load_dword v36, v35, s[8:9]
	global_load_dword v37, v34, s[8:9]
	;; [unrolled: 1-line block ×3, first 2 shown]
	v_sub_u16_e32 v6, v16, v6
	v_mov_b32_e32 v19, 2
	v_lshrrev_b16_e32 v42, 12, v27
	v_lshlrev_b32_sdwa v40, v19, v6 dst_sel:DWORD dst_unused:UNUSED_PAD src0_sel:DWORD src1_sel:BYTE_0
	v_mul_lo_u16_e32 v6, 17, v42
	v_sub_u16_e32 v6, v0, v6
	global_load_dword v41, v40, s[8:9]
	v_lshlrev_b32_sdwa v43, v19, v6 dst_sel:DWORD dst_unused:UNUSED_PAD src0_sel:DWORD src1_sel:BYTE_0
	global_load_dword v44, v43, s[8:9]
	v_add_u32_e32 v8, 0xa00, v22
	v_add_u32_e32 v9, 0x200, v22
	ds_read2_b32 v[10:11], v22 offset1:119
	ds_read2_b32 v[6:7], v4 offset0:56 offset1:175
	ds_read2_b32 v[12:13], v26 offset0:92 offset1:211
	v_add_u32_e32 v4, 0x1200, v22
	ds_read2_b32 v[14:15], v8 offset0:74 offset1:193
	ds_read2_b32 v[20:21], v9 offset0:110 offset1:229
	;; [unrolled: 1-line block ×3, first 2 shown]
	v_mul_u32_u24_e32 v4, 0x88, v42
	v_mul_u32_u24_e32 v18, 0x88, v18
	;; [unrolled: 1-line block ×5, first 2 shown]
	v_add3_u32 v42, 0, v4, v43
	v_add3_u32 v18, 0, v18, v33
	;; [unrolled: 1-line block ×3, first 2 shown]
	s_mov_b32 s4, 0xffff
	v_add3_u32 v28, 0, v28, v34
	v_add3_u32 v29, 0, v29, v35
	v_mul_u32_u24_e32 v39, 0x88, v39
	v_add3_u32 v39, 0, v39, v40
	s_waitcnt vmcnt(0) lgkmcnt(0)
	s_barrier
	v_pk_mul_f16 v4, v9, v32 op_sel:[0,1]
	v_pk_fma_f16 v35, v9, v32, v4 op_sel:[0,0,1] op_sel_hi:[1,1,0]
	v_pk_fma_f16 v4, v9, v32, v4 op_sel:[0,0,1] op_sel_hi:[1,0,0] neg_lo:[0,0,1] neg_hi:[0,0,1]
	v_bfi_b32 v4, s4, v35, v4
	v_pk_mul_f16 v31, v36, v8 op_sel:[0,1]
	v_pk_mul_f16 v33, v37, v7 op_sel:[0,1]
	;; [unrolled: 1-line block ×3, first 2 shown]
	v_pk_fma_f16 v9, v36, v8, v31 op_sel:[0,0,1] op_sel_hi:[1,1,0]
	v_pk_fma_f16 v8, v36, v8, v31 op_sel:[0,0,1] op_sel_hi:[1,0,0] neg_lo:[1,0,0] neg_hi:[1,0,0]
	v_pk_fma_f16 v31, v37, v7, v33 op_sel:[0,0,1] op_sel_hi:[1,1,0]
	v_pk_fma_f16 v7, v37, v7, v33 op_sel:[0,0,1] op_sel_hi:[1,0,0] neg_lo:[1,0,0] neg_hi:[1,0,0]
	;; [unrolled: 2-line block ×3, first 2 shown]
	v_bfi_b32 v8, s4, v9, v8
	v_bfi_b32 v7, s4, v31, v7
	v_bfi_b32 v31, s4, v32, v6
	v_pk_add_f16 v8, v12, v8 neg_lo:[0,1] neg_hi:[0,1]
	v_pk_add_f16 v6, v21, v7 neg_lo:[0,1] neg_hi:[0,1]
	;; [unrolled: 1-line block ×3, first 2 shown]
	v_pk_fma_f16 v7, v12, 2.0, v8 op_sel_hi:[1,0,1] neg_lo:[0,0,1] neg_hi:[0,0,1]
	v_pk_fma_f16 v12, v21, 2.0, v6 op_sel_hi:[1,0,1] neg_lo:[0,0,1] neg_hi:[0,0,1]
	v_pk_mul_f16 v21, v41, v15 op_sel:[0,1]
	v_pk_fma_f16 v9, v13, 2.0, v4 op_sel_hi:[1,0,1] neg_lo:[0,0,1] neg_hi:[0,0,1]
	v_pk_add_f16 v13, v20, v31 neg_lo:[0,1] neg_hi:[0,1]
	v_pk_fma_f16 v31, v41, v15, v21 op_sel:[0,0,1] op_sel_hi:[1,1,0]
	v_pk_fma_f16 v15, v41, v15, v21 op_sel:[0,0,1] op_sel_hi:[1,0,0] neg_lo:[1,0,0] neg_hi:[1,0,0]
	v_pk_mul_f16 v21, v44, v14 op_sel:[0,1]
	v_bfi_b32 v15, s4, v31, v15
	v_pk_fma_f16 v31, v44, v14, v21 op_sel:[0,0,1] op_sel_hi:[1,1,0]
	v_pk_fma_f16 v14, v44, v14, v21 op_sel:[0,0,1] op_sel_hi:[1,0,0] neg_lo:[1,0,0] neg_hi:[1,0,0]
	v_bfi_b32 v14, s4, v31, v14
	v_pk_add_f16 v15, v11, v15 neg_lo:[0,1] neg_hi:[0,1]
	v_pk_add_f16 v14, v10, v14 neg_lo:[0,1] neg_hi:[0,1]
	v_pk_fma_f16 v11, v11, 2.0, v15 op_sel_hi:[1,0,1] neg_lo:[0,0,1] neg_hi:[0,0,1]
	v_pk_fma_f16 v10, v10, 2.0, v14 op_sel_hi:[1,0,1] neg_lo:[0,0,1] neg_hi:[0,0,1]
	;; [unrolled: 1-line block ×3, first 2 shown]
	ds_write2_b32 v42, v10, v14 offset1:17
	ds_write2_b32 v39, v11, v15 offset1:17
	;; [unrolled: 1-line block ×6, first 2 shown]
	s_waitcnt lgkmcnt(0)
	s_barrier
	ds_read2_b32 v[10:11], v22 offset1:204
	ds_read2_b32 v[14:15], v26 offset0:24 offset1:228
	ds_read2_b32 v[12:13], v25 offset0:48 offset1:252
	ds_read_b32 v28, v22 offset:4896
	s_movk_i32 s4, 0x55
	v_cmp_gt_u32_e32 vcc, s4, v0
	v_lshrrev_b32_e32 v21, 16, v9
	v_lshrrev_b32_e32 v25, 16, v4
	;; [unrolled: 1-line block ×5, first 2 shown]
	s_and_saveexec_b64 s[4:5], vcc
	s_cbranch_execz .LBB0_21
; %bb.20:
	v_add_u32_e32 v1, 0x180, v22
	ds_read2_b32 v[6:7], v1 offset0:23 offset1:227
	v_add_u32_e32 v1, 0x800, v22
	ds_read2_b32 v[8:9], v1 offset0:15 offset1:219
	;; [unrolled: 2-line block ×3, first 2 shown]
	ds_read_u16 v20, v22 offset:2110
	ds_read_b32 v1, v22 offset:5372
	s_waitcnt lgkmcnt(4)
	v_lshrrev_b32_e32 v18, 16, v6
	v_lshrrev_b32_e32 v26, 16, v7
	s_waitcnt lgkmcnt(3)
	v_lshrrev_b32_e32 v21, 16, v9
	s_waitcnt lgkmcnt(2)
	v_lshrrev_b32_e32 v25, 16, v4
	v_lshrrev_b32_e32 v24, 16, v5
	s_waitcnt lgkmcnt(0)
	v_lshrrev_b32_e32 v23, 16, v1
.LBB0_21:
	s_or_b64 exec, exec, s[4:5]
	v_lshrrev_b16_e32 v35, 13, v27
	v_mul_lo_u16_e32 v27, 34, v35
	v_sub_u16_e32 v36, v0, v27
	v_mov_b32_e32 v27, 6
	v_mul_u32_u24_sdwa v29, v36, v27 dst_sel:DWORD dst_unused:UNUSED_PAD src0_sel:BYTE_0 src1_sel:DWORD
	v_lshlrev_b32_e32 v37, 2, v29
	global_load_dwordx4 v[29:32], v37, s[8:9] offset:68
	global_load_dwordx2 v[33:34], v37, s[8:9] offset:84
	s_waitcnt lgkmcnt(3)
	v_lshrrev_b32_e32 v37, 16, v11
	s_waitcnt lgkmcnt(2)
	v_lshrrev_b32_e32 v38, 16, v14
	;; [unrolled: 2-line block ×4, first 2 shown]
	v_lshrrev_b32_e32 v39, 16, v15
	v_lshrrev_b32_e32 v40, 16, v12
	s_movk_i32 s11, 0x2b26
	s_mov_b32 s6, 0xbb00
	s_mov_b32 s10, 0xbcab
	s_movk_i32 s7, 0x39e0
	s_mov_b32 s12, 0xb9e0
	s_mov_b32 s14, 0xb574
	s_movk_i32 s15, 0x3574
	s_mov_b32 s13, 0xb70e
	v_lshlrev_b32_sdwa v19, v19, v36 dst_sel:DWORD dst_unused:UNUSED_PAD src0_sel:DWORD src1_sel:BYTE_0
	s_waitcnt vmcnt(0)
	s_barrier
	v_mul_f16_sdwa v43, v29, v37 dst_sel:DWORD dst_unused:UNUSED_PAD src0_sel:WORD_1 src1_sel:DWORD
	v_mul_f16_sdwa v44, v29, v11 dst_sel:DWORD dst_unused:UNUSED_PAD src0_sel:WORD_1 src1_sel:DWORD
	;; [unrolled: 1-line block ×12, first 2 shown]
	v_fma_f16 v11, v29, v11, v43
	v_fma_f16 v29, v29, v37, -v44
	v_fma_f16 v14, v30, v14, v45
	v_fma_f16 v30, v30, v38, -v46
	;; [unrolled: 2-line block ×6, first 2 shown]
	v_add_f16_e32 v37, v11, v28
	v_add_f16_e32 v38, v29, v34
	v_sub_f16_e32 v11, v11, v28
	v_sub_f16_e32 v28, v29, v34
	v_add_f16_e32 v29, v14, v13
	v_add_f16_e32 v34, v30, v33
	v_sub_f16_e32 v13, v14, v13
	v_sub_f16_e32 v14, v30, v33
	;; [unrolled: 4-line block ×4, first 2 shown]
	v_sub_f16_e32 v37, v37, v30
	v_sub_f16_e32 v38, v38, v33
	;; [unrolled: 1-line block ×4, first 2 shown]
	v_add_f16_e32 v41, v12, v13
	v_add_f16_e32 v42, v15, v14
	v_sub_f16_e32 v43, v12, v13
	v_sub_f16_e32 v44, v15, v14
	;; [unrolled: 1-line block ×3, first 2 shown]
	v_add_f16_e32 v30, v30, v31
	v_add_f16_e32 v31, v33, v32
	v_sub_f16_e32 v12, v11, v12
	v_sub_f16_e32 v15, v28, v15
	;; [unrolled: 1-line block ×3, first 2 shown]
	v_add_f16_e32 v11, v41, v11
	v_add_f16_e32 v28, v42, v28
	v_mul_f16_e32 v32, 0x3a52, v37
	v_mul_f16_e32 v33, 0x3a52, v38
	;; [unrolled: 1-line block ×7, first 2 shown]
	v_add_f16_e32 v45, v30, v10
	v_add_f16_sdwa v10, v31, v10 dst_sel:DWORD dst_unused:UNUSED_PAD src0_sel:DWORD src1_sel:WORD_1
	v_mul_f16_e32 v44, 0xbb00, v14
	v_fma_f16 v29, v29, s11, v32
	v_fma_f16 v34, v34, s11, v33
	v_fma_f16 v37, v39, s7, -v37
	v_fma_f16 v38, v40, s7, -v38
	;; [unrolled: 1-line block ×3, first 2 shown]
	v_fma_f16 v30, v30, s10, v45
	v_fma_f16 v31, v31, s10, v10
	v_fma_f16 v33, v40, s12, -v33
	v_fma_f16 v39, v12, s14, v41
	v_fma_f16 v40, v15, s14, v42
	v_fma_f16 v13, v13, s6, -v41
	v_fma_f16 v12, v12, s15, -v43
	;; [unrolled: 1-line block ×4, first 2 shown]
	v_add_f16_e32 v29, v29, v30
	v_add_f16_e32 v34, v34, v31
	;; [unrolled: 1-line block ×6, first 2 shown]
	v_fma_f16 v32, v11, s13, v39
	v_fma_f16 v33, v28, s13, v40
	;; [unrolled: 1-line block ×6, first 2 shown]
	v_add_f16_e32 v15, v33, v29
	v_sub_f16_e32 v28, v34, v32
	v_sub_f16_e32 v40, v31, v11
	v_add_f16_e32 v11, v11, v31
	v_mul_u32_u24_e32 v31, 0x3b8, v35
	v_add_f16_e32 v39, v12, v30
	v_sub_f16_e32 v41, v37, v14
	v_add_f16_e32 v42, v13, v38
	v_add3_u32 v19, 0, v31, v19
	v_pack_b32_f16 v10, v45, v10
	v_pack_b32_f16 v15, v15, v28
	v_add_f16_e32 v14, v14, v37
	v_sub_f16_e32 v13, v38, v13
	v_sub_f16_e32 v12, v30, v12
	ds_write2_b32 v19, v10, v15 offset1:34
	v_pack_b32_f16 v10, v39, v40
	v_pack_b32_f16 v15, v41, v42
	v_sub_f16_e32 v29, v29, v33
	v_add_f16_e32 v30, v32, v34
	ds_write2_b32 v19, v10, v15 offset0:68 offset1:102
	v_pack_b32_f16 v10, v14, v13
	v_pack_b32_f16 v11, v12, v11
	ds_write2_b32 v19, v10, v11 offset0:136 offset1:170
	v_pack_b32_f16 v10, v29, v30
	ds_write_b32 v19, v10 offset:816
	s_and_saveexec_b64 s[4:5], vcc
	s_cbranch_execz .LBB0_23
; %bb.22:
	v_lshrrev_b16_e32 v17, 13, v17
	v_mul_lo_u16_e32 v10, 34, v17
	v_sub_u16_e32 v16, v16, v10
	v_mul_u32_u24_sdwa v10, v16, v27 dst_sel:DWORD dst_unused:UNUSED_PAD src0_sel:BYTE_0 src1_sel:DWORD
	v_lshlrev_b32_e32 v19, 2, v10
	global_load_dwordx4 v[10:13], v19, s[8:9] offset:68
	global_load_dwordx2 v[14:15], v19, s[8:9] offset:84
	s_waitcnt vmcnt(1)
	v_mul_f16_sdwa v19, v26, v10 dst_sel:DWORD dst_unused:UNUSED_PAD src0_sel:DWORD src1_sel:WORD_1
	s_waitcnt vmcnt(0)
	v_mul_f16_sdwa v27, v23, v15 dst_sel:DWORD dst_unused:UNUSED_PAD src0_sel:DWORD src1_sel:WORD_1
	v_mul_f16_sdwa v30, v20, v11 dst_sel:DWORD dst_unused:UNUSED_PAD src0_sel:DWORD src1_sel:WORD_1
	;; [unrolled: 1-line block ×11, first 2 shown]
	v_fma_f16 v7, v7, v10, v19
	v_fma_f16 v1, v1, v15, v27
	;; [unrolled: 1-line block ×4, first 2 shown]
	v_fma_f16 v15, v23, v15, -v32
	v_fma_f16 v10, v26, v10, -v33
	v_fma_f16 v14, v24, v14, -v36
	v_fma_f16 v11, v20, v11, -v37
	v_fma_f16 v4, v4, v13, v28
	v_fma_f16 v9, v9, v12, v29
	v_fma_f16 v12, v21, v12, -v34
	v_fma_f16 v13, v25, v13, -v35
	v_add_f16_e32 v23, v10, v15
	v_add_f16_e32 v25, v11, v14
	v_sub_f16_e32 v19, v7, v1
	v_sub_f16_e32 v20, v4, v9
	;; [unrolled: 1-line block ×3, first 2 shown]
	v_add_f16_e32 v24, v12, v13
	v_add_f16_e32 v1, v7, v1
	;; [unrolled: 1-line block ×3, first 2 shown]
	v_sub_f16_e32 v7, v10, v15
	v_add_f16_e32 v15, v25, v23
	v_add_f16_e32 v4, v9, v4
	v_sub_f16_e32 v8, v13, v12
	v_sub_f16_e32 v9, v11, v14
	;; [unrolled: 1-line block ×3, first 2 shown]
	v_add_f16_e32 v12, v20, v21
	v_sub_f16_e32 v13, v23, v24
	v_sub_f16_e32 v14, v24, v25
	v_add_f16_e32 v27, v5, v1
	v_add_f16_e32 v15, v24, v15
	v_sub_f16_e32 v10, v19, v20
	v_sub_f16_e32 v20, v1, v4
	;; [unrolled: 1-line block ×5, first 2 shown]
	v_add_f16_e32 v8, v8, v9
	v_sub_f16_e32 v21, v21, v19
	v_sub_f16_e32 v23, v25, v23
	;; [unrolled: 1-line block ×4, first 2 shown]
	v_mul_f16_e32 v9, 0x3846, v11
	v_add_f16_e32 v11, v12, v19
	v_mul_f16_e32 v12, 0x3a52, v13
	v_mul_f16_e32 v13, 0x2b26, v14
	v_add_f16_e32 v4, v4, v27
	v_add_f16_e32 v18, v18, v15
	v_mul_f16_e32 v19, 0x3a52, v20
	v_mul_f16_e32 v20, 0x2b26, v26
	;; [unrolled: 1-line block ×3, first 2 shown]
	v_add_f16_e32 v7, v8, v7
	v_mul_f16_e32 v8, 0xbb00, v21
	v_mul_f16_e32 v25, 0xbb00, v5
	v_fma_f16 v27, v10, s14, v9
	v_add_f16_e32 v6, v6, v4
	v_fma_f16 v15, v15, s10, v18
	v_fma_f16 v13, v23, s7, -v13
	v_fma_f16 v9, v21, s6, -v9
	v_fma_f16 v14, v14, s11, v12
	v_fma_f16 v26, v26, s11, v19
	;; [unrolled: 1-line block ×3, first 2 shown]
	v_fma_f16 v8, v10, s15, -v8
	v_fma_f16 v10, v23, s12, -v12
	;; [unrolled: 1-line block ×4, first 2 shown]
	v_fma_f16 v4, v4, s10, v6
	v_add_f16_e32 v13, v13, v15
	v_fma_f16 v9, v11, s13, v9
	v_fma_f16 v5, v5, s6, -v24
	v_fma_f16 v1, v1, s7, -v20
	v_fma_f16 v25, v11, s13, v27
	v_fma_f16 v27, v7, s13, v29
	;; [unrolled: 1-line block ×4, first 2 shown]
	v_add_f16_e32 v10, v10, v15
	v_add_f16_e32 v12, v12, v4
	v_sub_f16_e32 v11, v13, v9
	v_fma_f16 v5, v7, s13, v5
	v_add_f16_e32 v1, v1, v4
	v_add_f16_e32 v7, v9, v13
	v_mov_b32_e32 v13, 2
	v_add_f16_e32 v26, v26, v4
	v_add_f16_e32 v30, v8, v10
	v_sub_f16_e32 v31, v12, v19
	v_add_f16_e32 v4, v5, v1
	v_sub_f16_e32 v1, v1, v5
	v_sub_f16_e32 v5, v10, v8
	v_add_f16_e32 v8, v19, v12
	v_mul_u32_u24_e32 v12, 0x3b8, v17
	v_lshlrev_b32_sdwa v13, v13, v16 dst_sel:DWORD dst_unused:UNUSED_PAD src0_sel:DWORD src1_sel:BYTE_0
	v_add_f16_e32 v14, v14, v15
	v_add3_u32 v12, 0, v12, v13
	v_pack_b32_f16 v5, v8, v5
	v_pack_b32_f16 v1, v1, v7
	v_add_f16_e32 v28, v25, v14
	v_sub_f16_e32 v29, v26, v27
	v_sub_f16_e32 v9, v14, v25
	v_add_f16_e32 v10, v27, v26
	ds_write2_b32 v12, v5, v1 offset0:68 offset1:102
	v_pack_b32_f16 v1, v4, v11
	v_pack_b32_f16 v4, v31, v30
	;; [unrolled: 1-line block ×4, first 2 shown]
	ds_write2_b32 v12, v1, v4 offset0:136 offset1:170
	v_pack_b32_f16 v1, v29, v28
	ds_write2_b32 v12, v6, v9 offset1:34
	ds_write_b32 v12, v1 offset:816
.LBB0_23:
	s_or_b64 exec, exec, s[4:5]
	v_mul_u32_u24_e32 v1, 5, v0
	v_lshlrev_b32_e32 v1, 2, v1
	s_waitcnt lgkmcnt(0)
	s_barrier
	global_load_dwordx4 v[4:7], v1, s[8:9] offset:884
	global_load_dword v25, v1, s[8:9] offset:900
	global_load_dwordx4 v[8:11], v1, s[8:9] offset:3264
	global_load_dword v26, v1, s[8:9] offset:3280
	v_add_u32_e32 v1, 0x200, v22
	ds_read2_b32 v[12:13], v22 offset1:119
	v_add_u32_e32 v27, 0x600, v22
	v_add_u32_e32 v28, 0xa00, v22
	;; [unrolled: 1-line block ×4, first 2 shown]
	ds_read2_b32 v[14:15], v1 offset0:110 offset1:229
	ds_read2_b32 v[16:17], v27 offset0:92 offset1:211
	;; [unrolled: 1-line block ×5, first 2 shown]
	s_waitcnt lgkmcnt(5)
	v_lshrrev_b32_e32 v31, 16, v12
	s_waitcnt lgkmcnt(3)
	v_lshrrev_b32_e32 v39, 16, v16
	v_lshrrev_b32_e32 v34, 16, v17
	s_waitcnt lgkmcnt(1)
	v_lshrrev_b32_e32 v41, 16, v20
	v_lshrrev_b32_e32 v35, 16, v19
	;; [unrolled: 1-line block ×4, first 2 shown]
	s_waitcnt lgkmcnt(0)
	v_lshrrev_b32_e32 v42, 16, v23
	v_lshrrev_b32_e32 v33, 16, v15
	;; [unrolled: 1-line block ×3, first 2 shown]
	s_mov_b32 s4, 0xbaee
	s_movk_i32 s5, 0x3aee
	v_lshrrev_b32_e32 v37, 16, v24
	v_lshrrev_b32_e32 v32, 16, v13
	s_waitcnt vmcnt(0)
	s_barrier
	v_mul_f16_sdwa v45, v5, v39 dst_sel:DWORD dst_unused:UNUSED_PAD src0_sel:WORD_1 src1_sel:DWORD
	v_mul_f16_sdwa v46, v5, v16 dst_sel:DWORD dst_unused:UNUSED_PAD src0_sel:WORD_1 src1_sel:DWORD
	;; [unrolled: 1-line block ×6, first 2 shown]
	v_mul_f16_sdwa v55, v34, v9 dst_sel:DWORD dst_unused:UNUSED_PAD src0_sel:DWORD src1_sel:WORD_1
	v_mul_f16_sdwa v56, v17, v9 dst_sel:DWORD dst_unused:UNUSED_PAD src0_sel:DWORD src1_sel:WORD_1
	;; [unrolled: 1-line block ×6, first 2 shown]
	v_fma_f16 v16, v5, v16, v45
	v_fma_f16 v5, v5, v39, -v46
	v_fma_f16 v20, v7, v20, v49
	v_fma_f16 v7, v7, v41, -v50
	v_mul_f16_sdwa v43, v4, v38 dst_sel:DWORD dst_unused:UNUSED_PAD src0_sel:WORD_1 src1_sel:DWORD
	v_mul_f16_sdwa v48, v6, v18 dst_sel:DWORD dst_unused:UNUSED_PAD src0_sel:WORD_1 src1_sel:DWORD
	;; [unrolled: 1-line block ×3, first 2 shown]
	v_mul_f16_sdwa v53, v33, v8 dst_sel:DWORD dst_unused:UNUSED_PAD src0_sel:DWORD src1_sel:WORD_1
	v_mul_f16_sdwa v54, v15, v8 dst_sel:DWORD dst_unused:UNUSED_PAD src0_sel:DWORD src1_sel:WORD_1
	v_fma_f16 v18, v6, v18, v47
	v_fma_f16 v23, v25, v23, v51
	;; [unrolled: 1-line block ×3, first 2 shown]
	v_fma_f16 v9, v34, v9, -v56
	v_fma_f16 v19, v19, v10, v57
	v_fma_f16 v10, v35, v10, -v58
	v_fma_f16 v21, v21, v11, v59
	v_fma_f16 v11, v36, v11, -v60
	v_add_f16_e32 v34, v16, v20
	v_sub_f16_e32 v35, v5, v7
	v_add_f16_e32 v36, v31, v5
	v_add_f16_e32 v5, v5, v7
	v_mul_f16_sdwa v44, v4, v14 dst_sel:DWORD dst_unused:UNUSED_PAD src0_sel:WORD_1 src1_sel:DWORD
	v_fma_f16 v14, v4, v14, v43
	v_fma_f16 v6, v6, v40, -v48
	v_fma_f16 v25, v25, v42, -v52
	v_fma_f16 v15, v15, v8, v53
	v_fma_f16 v8, v33, v8, -v54
	v_add_f16_e32 v33, v12, v16
	v_sub_f16_e32 v16, v16, v20
	v_fma_f16 v12, v34, -0.5, v12
	v_fma_f16 v5, v5, -0.5, v31
	v_add_f16_e32 v34, v18, v23
	v_fma_f16 v4, v4, v38, -v44
	v_add_f16_e32 v20, v33, v20
	v_fma_f16 v33, v16, s5, v5
	v_fma_f16 v5, v16, s4, v5
	v_add_f16_e32 v16, v14, v18
	v_fma_f16 v14, v34, -0.5, v14
	v_sub_f16_e32 v34, v6, v25
	v_fma_f16 v31, v35, s4, v12
	v_fma_f16 v12, v35, s5, v12
	;; [unrolled: 1-line block ×4, first 2 shown]
	v_add_f16_e32 v34, v4, v6
	v_add_f16_e32 v6, v6, v25
	v_fma_f16 v4, v6, -0.5, v4
	v_sub_f16_e32 v6, v18, v23
	v_fma_f16 v18, v6, s5, v4
	v_add_f16_e32 v16, v16, v23
	v_fma_f16 v4, v6, s4, v4
	v_mul_f16_e32 v23, 0xbaee, v18
	v_add_f16_e32 v7, v36, v7
	v_fma_f16 v23, v35, 0.5, v23
	v_mul_f16_e32 v36, 0xbaee, v4
	v_mul_f16_e32 v4, -0.5, v4
	v_add_f16_e32 v34, v34, v25
	v_add_f16_e32 v6, v20, v16
	;; [unrolled: 1-line block ×3, first 2 shown]
	v_fma_f16 v4, v14, s5, v4
	v_sub_f16_e32 v16, v20, v16
	v_sub_f16_e32 v20, v31, v23
	v_add_f16_e32 v23, v17, v21
	v_mul_f16_sdwa v61, v37, v26 dst_sel:DWORD dst_unused:UNUSED_PAD src0_sel:DWORD src1_sel:WORD_1
	v_fma_f16 v36, v14, -0.5, v36
	v_add_f16_e32 v14, v5, v4
	v_sub_f16_e32 v4, v5, v4
	v_add_f16_e32 v5, v13, v17
	v_fma_f16 v13, v23, -0.5, v13
	v_sub_f16_e32 v23, v9, v11
	v_mul_f16_sdwa v62, v24, v26 dst_sel:DWORD dst_unused:UNUSED_PAD src0_sel:DWORD src1_sel:WORD_1
	v_fma_f16 v24, v24, v26, v61
	v_fma_f16 v31, v23, s4, v13
	;; [unrolled: 1-line block ×3, first 2 shown]
	v_add_f16_e32 v23, v32, v9
	v_add_f16_e32 v9, v9, v11
	v_fma_f16 v26, v37, v26, -v62
	v_add_f16_e32 v5, v5, v21
	v_add_f16_e32 v23, v23, v11
	v_fma_f16 v9, v9, -0.5, v32
	v_sub_f16_e32 v11, v17, v21
	v_add_f16_e32 v21, v19, v24
	v_fma_f16 v17, v11, s5, v9
	v_fma_f16 v9, v11, s4, v9
	v_add_f16_e32 v11, v15, v19
	v_fma_f16 v15, v21, -0.5, v15
	v_sub_f16_e32 v21, v10, v26
	v_fma_f16 v32, v21, s4, v15
	v_fma_f16 v15, v21, s5, v15
	v_add_f16_e32 v21, v8, v10
	v_add_f16_e32 v10, v10, v26
	v_fma_f16 v8, v10, -0.5, v8
	v_sub_f16_e32 v10, v19, v24
	v_mul_f16_e32 v18, 0.5, v18
	v_fma_f16 v19, v10, s5, v8
	v_fma_f16 v18, v35, s5, v18
	v_add_f16_e32 v11, v11, v24
	v_add_f16_e32 v21, v21, v26
	v_fma_f16 v8, v10, s4, v8
	v_mul_f16_e32 v24, 0xbaee, v19
	v_mul_f16_e32 v19, 0.5, v19
	v_add_f16_e32 v37, v12, v36
	v_add_f16_e32 v38, v7, v34
	;; [unrolled: 1-line block ×3, first 2 shown]
	v_sub_f16_e32 v12, v12, v36
	v_sub_f16_e32 v18, v33, v18
	v_add_f16_e32 v10, v5, v11
	v_fma_f16 v24, v32, 0.5, v24
	v_mul_f16_e32 v33, 0xbaee, v8
	v_add_f16_e32 v36, v23, v21
	v_fma_f16 v19, v32, s5, v19
	v_mul_f16_e32 v8, -0.5, v8
	v_add_f16_e32 v26, v31, v24
	v_fma_f16 v33, v15, -0.5, v33
	v_add_f16_e32 v32, v17, v19
	v_fma_f16 v8, v15, s5, v8
	v_pack_b32_f16 v6, v6, v38
	v_pack_b32_f16 v10, v10, v36
	v_sub_f16_e32 v7, v7, v34
	v_add_f16_e32 v34, v13, v33
	v_add_f16_e32 v15, v9, v8
	v_sub_f16_e32 v8, v9, v8
	v_pack_b32_f16 v9, v25, v35
	ds_write2_b32 v22, v6, v10 offset1:119
	v_pack_b32_f16 v6, v26, v32
	v_sub_f16_e32 v5, v5, v11
	v_sub_f16_e32 v21, v23, v21
	v_pack_b32_f16 v14, v37, v14
	ds_write2_b32 v1, v9, v6 offset0:110 offset1:229
	v_pack_b32_f16 v1, v34, v15
	v_sub_f16_e32 v11, v31, v24
	v_sub_f16_e32 v17, v17, v19
	v_pack_b32_f16 v7, v16, v7
	ds_write2_b32 v27, v14, v1 offset0:92 offset1:211
	v_pack_b32_f16 v1, v5, v21
	v_sub_f16_e32 v13, v13, v33
	v_pack_b32_f16 v16, v20, v18
	ds_write2_b32 v28, v7, v1 offset0:74 offset1:193
	v_pack_b32_f16 v1, v11, v17
	v_pack_b32_f16 v4, v12, v4
	ds_write2_b32 v29, v16, v1 offset0:56 offset1:175
	v_pack_b32_f16 v1, v13, v8
	ds_write2_b32 v30, v4, v1 offset0:38 offset1:157
	s_waitcnt lgkmcnt(0)
	s_barrier
	s_and_saveexec_b64 s[4:5], s[0:1]
	s_cbranch_execz .LBB0_25
; %bb.24:
	v_lshl_add_u32 v6, v0, 2, 0
	v_mov_b32_e32 v1, 0
	ds_read2_b32 v[4:5], v6 offset1:119
	v_mov_b32_e32 v7, s3
	v_add_co_u32_e32 v8, vcc, s2, v2
	v_addc_co_u32_e32 v7, vcc, v7, v3, vcc
	v_lshlrev_b64 v[2:3], 2, v[0:1]
	v_add_co_u32_e32 v2, vcc, v8, v2
	v_addc_co_u32_e32 v3, vcc, v7, v3, vcc
	s_waitcnt lgkmcnt(0)
	global_store_dword v[2:3], v4, off
	v_add_u32_e32 v2, 0x77, v0
	v_mov_b32_e32 v3, v1
	v_lshlrev_b64 v[2:3], 2, v[2:3]
	v_add_u32_e32 v4, 0x200, v6
	v_add_co_u32_e32 v2, vcc, v8, v2
	v_addc_co_u32_e32 v3, vcc, v7, v3, vcc
	global_store_dword v[2:3], v5, off
	v_add_u32_e32 v2, 0xee, v0
	v_mov_b32_e32 v3, v1
	ds_read2_b32 v[4:5], v4 offset0:110 offset1:229
	v_lshlrev_b64 v[2:3], 2, v[2:3]
	v_add_co_u32_e32 v2, vcc, v8, v2
	v_addc_co_u32_e32 v3, vcc, v7, v3, vcc
	s_waitcnt lgkmcnt(0)
	global_store_dword v[2:3], v4, off
	v_add_u32_e32 v2, 0x165, v0
	v_mov_b32_e32 v3, v1
	v_lshlrev_b64 v[2:3], 2, v[2:3]
	v_add_u32_e32 v4, 0x600, v6
	v_add_co_u32_e32 v2, vcc, v8, v2
	v_addc_co_u32_e32 v3, vcc, v7, v3, vcc
	global_store_dword v[2:3], v5, off
	v_add_u32_e32 v2, 0x1dc, v0
	v_mov_b32_e32 v3, v1
	ds_read2_b32 v[4:5], v4 offset0:92 offset1:211
	v_lshlrev_b64 v[2:3], 2, v[2:3]
	v_add_co_u32_e32 v2, vcc, v8, v2
	v_addc_co_u32_e32 v3, vcc, v7, v3, vcc
	s_waitcnt lgkmcnt(0)
	global_store_dword v[2:3], v4, off
	v_add_u32_e32 v2, 0x253, v0
	v_mov_b32_e32 v3, v1
	v_lshlrev_b64 v[2:3], 2, v[2:3]
	v_add_u32_e32 v4, 0xa00, v6
	v_add_co_u32_e32 v2, vcc, v8, v2
	v_addc_co_u32_e32 v3, vcc, v7, v3, vcc
	global_store_dword v[2:3], v5, off
	v_add_u32_e32 v2, 0x2ca, v0
	v_mov_b32_e32 v3, v1
	ds_read2_b32 v[4:5], v4 offset0:74 offset1:193
	v_lshlrev_b64 v[2:3], 2, v[2:3]
	v_add_co_u32_e32 v2, vcc, v8, v2
	v_addc_co_u32_e32 v3, vcc, v7, v3, vcc
	s_waitcnt lgkmcnt(0)
	global_store_dword v[2:3], v4, off
	v_add_u32_e32 v2, 0x341, v0
	v_mov_b32_e32 v3, v1
	v_lshlrev_b64 v[2:3], 2, v[2:3]
	v_add_u32_e32 v4, 0xe00, v6
	v_add_co_u32_e32 v2, vcc, v8, v2
	v_addc_co_u32_e32 v3, vcc, v7, v3, vcc
	global_store_dword v[2:3], v5, off
	v_add_u32_e32 v2, 0x3b8, v0
	v_mov_b32_e32 v3, v1
	ds_read2_b32 v[4:5], v4 offset0:56 offset1:175
	v_lshlrev_b64 v[2:3], 2, v[2:3]
	v_add_co_u32_e32 v2, vcc, v8, v2
	v_addc_co_u32_e32 v3, vcc, v7, v3, vcc
	s_waitcnt lgkmcnt(0)
	global_store_dword v[2:3], v4, off
	v_add_u32_e32 v2, 0x42f, v0
	v_mov_b32_e32 v3, v1
	v_lshlrev_b64 v[2:3], 2, v[2:3]
	v_add_u32_e32 v4, 0x1200, v6
	v_add_co_u32_e32 v2, vcc, v8, v2
	v_addc_co_u32_e32 v3, vcc, v7, v3, vcc
	global_store_dword v[2:3], v5, off
	v_add_u32_e32 v2, 0x4a6, v0
	v_mov_b32_e32 v3, v1
	v_lshlrev_b64 v[2:3], 2, v[2:3]
	ds_read2_b32 v[4:5], v4 offset0:38 offset1:157
	v_add_u32_e32 v0, 0x51d, v0
	v_add_co_u32_e32 v2, vcc, v8, v2
	v_lshlrev_b64 v[0:1], 2, v[0:1]
	v_addc_co_u32_e32 v3, vcc, v7, v3, vcc
	v_add_co_u32_e32 v0, vcc, v8, v0
	v_addc_co_u32_e32 v1, vcc, v7, v1, vcc
	s_waitcnt lgkmcnt(0)
	global_store_dword v[2:3], v4, off
	global_store_dword v[0:1], v5, off
.LBB0_25:
	s_endpgm
	.section	.rodata,"a",@progbits
	.p2align	6, 0x0
	.amdhsa_kernel fft_rtc_back_len1428_factors_17_2_7_6_wgs_119_tpt_119_halfLds_half_ip_CI_unitstride_sbrr_C2R_dirReg
		.amdhsa_group_segment_fixed_size 0
		.amdhsa_private_segment_fixed_size 0
		.amdhsa_kernarg_size 88
		.amdhsa_user_sgpr_count 6
		.amdhsa_user_sgpr_private_segment_buffer 1
		.amdhsa_user_sgpr_dispatch_ptr 0
		.amdhsa_user_sgpr_queue_ptr 0
		.amdhsa_user_sgpr_kernarg_segment_ptr 1
		.amdhsa_user_sgpr_dispatch_id 0
		.amdhsa_user_sgpr_flat_scratch_init 0
		.amdhsa_user_sgpr_private_segment_size 0
		.amdhsa_uses_dynamic_stack 0
		.amdhsa_system_sgpr_private_segment_wavefront_offset 0
		.amdhsa_system_sgpr_workgroup_id_x 1
		.amdhsa_system_sgpr_workgroup_id_y 0
		.amdhsa_system_sgpr_workgroup_id_z 0
		.amdhsa_system_sgpr_workgroup_info 0
		.amdhsa_system_vgpr_workitem_id 0
		.amdhsa_next_free_vgpr 127
		.amdhsa_next_free_sgpr 34
		.amdhsa_reserve_vcc 1
		.amdhsa_reserve_flat_scratch 0
		.amdhsa_float_round_mode_32 0
		.amdhsa_float_round_mode_16_64 0
		.amdhsa_float_denorm_mode_32 3
		.amdhsa_float_denorm_mode_16_64 3
		.amdhsa_dx10_clamp 1
		.amdhsa_ieee_mode 1
		.amdhsa_fp16_overflow 0
		.amdhsa_exception_fp_ieee_invalid_op 0
		.amdhsa_exception_fp_denorm_src 0
		.amdhsa_exception_fp_ieee_div_zero 0
		.amdhsa_exception_fp_ieee_overflow 0
		.amdhsa_exception_fp_ieee_underflow 0
		.amdhsa_exception_fp_ieee_inexact 0
		.amdhsa_exception_int_div_zero 0
	.end_amdhsa_kernel
	.text
.Lfunc_end0:
	.size	fft_rtc_back_len1428_factors_17_2_7_6_wgs_119_tpt_119_halfLds_half_ip_CI_unitstride_sbrr_C2R_dirReg, .Lfunc_end0-fft_rtc_back_len1428_factors_17_2_7_6_wgs_119_tpt_119_halfLds_half_ip_CI_unitstride_sbrr_C2R_dirReg
                                        ; -- End function
	.section	.AMDGPU.csdata,"",@progbits
; Kernel info:
; codeLenInByte = 11972
; NumSgprs: 38
; NumVgprs: 127
; ScratchSize: 0
; MemoryBound: 0
; FloatMode: 240
; IeeeMode: 1
; LDSByteSize: 0 bytes/workgroup (compile time only)
; SGPRBlocks: 4
; VGPRBlocks: 31
; NumSGPRsForWavesPerEU: 38
; NumVGPRsForWavesPerEU: 127
; Occupancy: 2
; WaveLimiterHint : 1
; COMPUTE_PGM_RSRC2:SCRATCH_EN: 0
; COMPUTE_PGM_RSRC2:USER_SGPR: 6
; COMPUTE_PGM_RSRC2:TRAP_HANDLER: 0
; COMPUTE_PGM_RSRC2:TGID_X_EN: 1
; COMPUTE_PGM_RSRC2:TGID_Y_EN: 0
; COMPUTE_PGM_RSRC2:TGID_Z_EN: 0
; COMPUTE_PGM_RSRC2:TIDIG_COMP_CNT: 0
	.type	__hip_cuid_ed5c1a0783bc421c,@object ; @__hip_cuid_ed5c1a0783bc421c
	.section	.bss,"aw",@nobits
	.globl	__hip_cuid_ed5c1a0783bc421c
__hip_cuid_ed5c1a0783bc421c:
	.byte	0                               ; 0x0
	.size	__hip_cuid_ed5c1a0783bc421c, 1

	.ident	"AMD clang version 19.0.0git (https://github.com/RadeonOpenCompute/llvm-project roc-6.4.0 25133 c7fe45cf4b819c5991fe208aaa96edf142730f1d)"
	.section	".note.GNU-stack","",@progbits
	.addrsig
	.addrsig_sym __hip_cuid_ed5c1a0783bc421c
	.amdgpu_metadata
---
amdhsa.kernels:
  - .args:
      - .actual_access:  read_only
        .address_space:  global
        .offset:         0
        .size:           8
        .value_kind:     global_buffer
      - .offset:         8
        .size:           8
        .value_kind:     by_value
      - .actual_access:  read_only
        .address_space:  global
        .offset:         16
        .size:           8
        .value_kind:     global_buffer
      - .actual_access:  read_only
        .address_space:  global
        .offset:         24
        .size:           8
        .value_kind:     global_buffer
      - .offset:         32
        .size:           8
        .value_kind:     by_value
      - .actual_access:  read_only
        .address_space:  global
        .offset:         40
        .size:           8
        .value_kind:     global_buffer
      - .actual_access:  read_only
        .address_space:  global
        .offset:         48
        .size:           8
        .value_kind:     global_buffer
      - .offset:         56
        .size:           4
        .value_kind:     by_value
      - .actual_access:  read_only
        .address_space:  global
        .offset:         64
        .size:           8
        .value_kind:     global_buffer
      - .actual_access:  read_only
        .address_space:  global
        .offset:         72
        .size:           8
        .value_kind:     global_buffer
      - .address_space:  global
        .offset:         80
        .size:           8
        .value_kind:     global_buffer
    .group_segment_fixed_size: 0
    .kernarg_segment_align: 8
    .kernarg_segment_size: 88
    .language:       OpenCL C
    .language_version:
      - 2
      - 0
    .max_flat_workgroup_size: 119
    .name:           fft_rtc_back_len1428_factors_17_2_7_6_wgs_119_tpt_119_halfLds_half_ip_CI_unitstride_sbrr_C2R_dirReg
    .private_segment_fixed_size: 0
    .sgpr_count:     38
    .sgpr_spill_count: 0
    .symbol:         fft_rtc_back_len1428_factors_17_2_7_6_wgs_119_tpt_119_halfLds_half_ip_CI_unitstride_sbrr_C2R_dirReg.kd
    .uniform_work_group_size: 1
    .uses_dynamic_stack: false
    .vgpr_count:     127
    .vgpr_spill_count: 0
    .wavefront_size: 64
amdhsa.target:   amdgcn-amd-amdhsa--gfx906
amdhsa.version:
  - 1
  - 2
...

	.end_amdgpu_metadata
